;; amdgpu-corpus repo=ROCm/rocFFT kind=compiled arch=gfx1100 opt=O3
	.text
	.amdgcn_target "amdgcn-amd-amdhsa--gfx1100"
	.amdhsa_code_object_version 6
	.protected	fft_rtc_back_len1496_factors_17_8_11_wgs_187_tpt_187_halfLds_dp_ip_CI_sbrr_dirReg ; -- Begin function fft_rtc_back_len1496_factors_17_8_11_wgs_187_tpt_187_halfLds_dp_ip_CI_sbrr_dirReg
	.globl	fft_rtc_back_len1496_factors_17_8_11_wgs_187_tpt_187_halfLds_dp_ip_CI_sbrr_dirReg
	.p2align	8
	.type	fft_rtc_back_len1496_factors_17_8_11_wgs_187_tpt_187_halfLds_dp_ip_CI_sbrr_dirReg,@function
fft_rtc_back_len1496_factors_17_8_11_wgs_187_tpt_187_halfLds_dp_ip_CI_sbrr_dirReg: ; @fft_rtc_back_len1496_factors_17_8_11_wgs_187_tpt_187_halfLds_dp_ip_CI_sbrr_dirReg
; %bb.0:
	s_clause 0x2
	s_load_b64 s[12:13], s[0:1], 0x18
	s_load_b128 s[4:7], s[0:1], 0x0
	s_load_b64 s[10:11], s[0:1], 0x50
	v_mul_u32_u24_e32 v1, 0x15f, v0
	v_mov_b32_e32 v3, 0
	v_mov_b32_e32 v4, 0
	s_delay_alu instid0(VALU_DEP_3) | instskip(SKIP_1) | instid1(VALU_DEP_1)
	v_lshrrev_b32_e32 v2, 16, v1
	v_mov_b32_e32 v1, 0
	v_dual_mov_b32 v6, v1 :: v_dual_add_nc_u32 v5, s15, v2
	s_waitcnt lgkmcnt(0)
	s_load_b64 s[8:9], s[12:13], 0x0
	v_cmp_lt_u64_e64 s2, s[6:7], 2
	s_delay_alu instid0(VALU_DEP_1)
	s_and_b32 vcc_lo, exec_lo, s2
	s_cbranch_vccnz .LBB0_8
; %bb.1:
	s_load_b64 s[2:3], s[0:1], 0x10
	v_mov_b32_e32 v3, 0
	s_add_u32 s14, s12, 8
	v_mov_b32_e32 v4, 0
	s_addc_u32 s15, s13, 0
	s_mov_b64 s[18:19], 1
	s_waitcnt lgkmcnt(0)
	s_add_u32 s16, s2, 8
	s_addc_u32 s17, s3, 0
.LBB0_2:                                ; =>This Inner Loop Header: Depth=1
	s_load_b64 s[20:21], s[16:17], 0x0
                                        ; implicit-def: $vgpr7_vgpr8
	s_mov_b32 s2, exec_lo
	s_waitcnt lgkmcnt(0)
	v_or_b32_e32 v2, s21, v6
	s_delay_alu instid0(VALU_DEP_1)
	v_cmpx_ne_u64_e32 0, v[1:2]
	s_xor_b32 s3, exec_lo, s2
	s_cbranch_execz .LBB0_4
; %bb.3:                                ;   in Loop: Header=BB0_2 Depth=1
	v_cvt_f32_u32_e32 v2, s20
	v_cvt_f32_u32_e32 v7, s21
	s_sub_u32 s2, 0, s20
	s_subb_u32 s22, 0, s21
	s_delay_alu instid0(VALU_DEP_1) | instskip(NEXT) | instid1(VALU_DEP_1)
	v_fmac_f32_e32 v2, 0x4f800000, v7
	v_rcp_f32_e32 v2, v2
	s_waitcnt_depctr 0xfff
	v_mul_f32_e32 v2, 0x5f7ffffc, v2
	s_delay_alu instid0(VALU_DEP_1) | instskip(NEXT) | instid1(VALU_DEP_1)
	v_mul_f32_e32 v7, 0x2f800000, v2
	v_trunc_f32_e32 v7, v7
	s_delay_alu instid0(VALU_DEP_1) | instskip(SKIP_1) | instid1(VALU_DEP_2)
	v_fmac_f32_e32 v2, 0xcf800000, v7
	v_cvt_u32_f32_e32 v7, v7
	v_cvt_u32_f32_e32 v2, v2
	s_delay_alu instid0(VALU_DEP_2) | instskip(NEXT) | instid1(VALU_DEP_2)
	v_mul_lo_u32 v8, s2, v7
	v_mul_hi_u32 v9, s2, v2
	v_mul_lo_u32 v10, s22, v2
	s_delay_alu instid0(VALU_DEP_2) | instskip(SKIP_1) | instid1(VALU_DEP_2)
	v_add_nc_u32_e32 v8, v9, v8
	v_mul_lo_u32 v9, s2, v2
	v_add_nc_u32_e32 v8, v8, v10
	s_delay_alu instid0(VALU_DEP_2) | instskip(NEXT) | instid1(VALU_DEP_2)
	v_mul_hi_u32 v10, v2, v9
	v_mul_lo_u32 v11, v2, v8
	v_mul_hi_u32 v12, v2, v8
	v_mul_hi_u32 v13, v7, v9
	v_mul_lo_u32 v9, v7, v9
	v_mul_hi_u32 v14, v7, v8
	v_mul_lo_u32 v8, v7, v8
	v_add_co_u32 v10, vcc_lo, v10, v11
	v_add_co_ci_u32_e32 v11, vcc_lo, 0, v12, vcc_lo
	s_delay_alu instid0(VALU_DEP_2) | instskip(NEXT) | instid1(VALU_DEP_2)
	v_add_co_u32 v9, vcc_lo, v10, v9
	v_add_co_ci_u32_e32 v9, vcc_lo, v11, v13, vcc_lo
	v_add_co_ci_u32_e32 v10, vcc_lo, 0, v14, vcc_lo
	s_delay_alu instid0(VALU_DEP_2) | instskip(NEXT) | instid1(VALU_DEP_2)
	v_add_co_u32 v8, vcc_lo, v9, v8
	v_add_co_ci_u32_e32 v9, vcc_lo, 0, v10, vcc_lo
	s_delay_alu instid0(VALU_DEP_2) | instskip(NEXT) | instid1(VALU_DEP_2)
	v_add_co_u32 v2, vcc_lo, v2, v8
	v_add_co_ci_u32_e32 v7, vcc_lo, v7, v9, vcc_lo
	s_delay_alu instid0(VALU_DEP_2) | instskip(SKIP_1) | instid1(VALU_DEP_3)
	v_mul_hi_u32 v8, s2, v2
	v_mul_lo_u32 v10, s22, v2
	v_mul_lo_u32 v9, s2, v7
	s_delay_alu instid0(VALU_DEP_1) | instskip(SKIP_1) | instid1(VALU_DEP_2)
	v_add_nc_u32_e32 v8, v8, v9
	v_mul_lo_u32 v9, s2, v2
	v_add_nc_u32_e32 v8, v8, v10
	s_delay_alu instid0(VALU_DEP_2) | instskip(NEXT) | instid1(VALU_DEP_2)
	v_mul_hi_u32 v10, v2, v9
	v_mul_lo_u32 v11, v2, v8
	v_mul_hi_u32 v12, v2, v8
	v_mul_hi_u32 v13, v7, v9
	v_mul_lo_u32 v9, v7, v9
	v_mul_hi_u32 v14, v7, v8
	v_mul_lo_u32 v8, v7, v8
	v_add_co_u32 v10, vcc_lo, v10, v11
	v_add_co_ci_u32_e32 v11, vcc_lo, 0, v12, vcc_lo
	s_delay_alu instid0(VALU_DEP_2) | instskip(NEXT) | instid1(VALU_DEP_2)
	v_add_co_u32 v9, vcc_lo, v10, v9
	v_add_co_ci_u32_e32 v9, vcc_lo, v11, v13, vcc_lo
	v_add_co_ci_u32_e32 v10, vcc_lo, 0, v14, vcc_lo
	s_delay_alu instid0(VALU_DEP_2) | instskip(NEXT) | instid1(VALU_DEP_2)
	v_add_co_u32 v8, vcc_lo, v9, v8
	v_add_co_ci_u32_e32 v9, vcc_lo, 0, v10, vcc_lo
	s_delay_alu instid0(VALU_DEP_2) | instskip(NEXT) | instid1(VALU_DEP_2)
	v_add_co_u32 v2, vcc_lo, v2, v8
	v_add_co_ci_u32_e32 v13, vcc_lo, v7, v9, vcc_lo
	s_delay_alu instid0(VALU_DEP_2) | instskip(SKIP_1) | instid1(VALU_DEP_3)
	v_mul_hi_u32 v14, v5, v2
	v_mad_u64_u32 v[9:10], null, v6, v2, 0
	v_mad_u64_u32 v[7:8], null, v5, v13, 0
	;; [unrolled: 1-line block ×3, first 2 shown]
	s_delay_alu instid0(VALU_DEP_2) | instskip(NEXT) | instid1(VALU_DEP_3)
	v_add_co_u32 v2, vcc_lo, v14, v7
	v_add_co_ci_u32_e32 v7, vcc_lo, 0, v8, vcc_lo
	s_delay_alu instid0(VALU_DEP_2) | instskip(NEXT) | instid1(VALU_DEP_2)
	v_add_co_u32 v2, vcc_lo, v2, v9
	v_add_co_ci_u32_e32 v2, vcc_lo, v7, v10, vcc_lo
	v_add_co_ci_u32_e32 v7, vcc_lo, 0, v12, vcc_lo
	s_delay_alu instid0(VALU_DEP_2) | instskip(NEXT) | instid1(VALU_DEP_2)
	v_add_co_u32 v2, vcc_lo, v2, v11
	v_add_co_ci_u32_e32 v9, vcc_lo, 0, v7, vcc_lo
	s_delay_alu instid0(VALU_DEP_2) | instskip(SKIP_1) | instid1(VALU_DEP_3)
	v_mul_lo_u32 v10, s21, v2
	v_mad_u64_u32 v[7:8], null, s20, v2, 0
	v_mul_lo_u32 v11, s20, v9
	s_delay_alu instid0(VALU_DEP_2) | instskip(NEXT) | instid1(VALU_DEP_2)
	v_sub_co_u32 v7, vcc_lo, v5, v7
	v_add3_u32 v8, v8, v11, v10
	s_delay_alu instid0(VALU_DEP_1) | instskip(NEXT) | instid1(VALU_DEP_1)
	v_sub_nc_u32_e32 v10, v6, v8
	v_subrev_co_ci_u32_e64 v10, s2, s21, v10, vcc_lo
	v_add_co_u32 v11, s2, v2, 2
	s_delay_alu instid0(VALU_DEP_1) | instskip(SKIP_3) | instid1(VALU_DEP_3)
	v_add_co_ci_u32_e64 v12, s2, 0, v9, s2
	v_sub_co_u32 v13, s2, v7, s20
	v_sub_co_ci_u32_e32 v8, vcc_lo, v6, v8, vcc_lo
	v_subrev_co_ci_u32_e64 v10, s2, 0, v10, s2
	v_cmp_le_u32_e32 vcc_lo, s20, v13
	s_delay_alu instid0(VALU_DEP_3) | instskip(SKIP_1) | instid1(VALU_DEP_4)
	v_cmp_eq_u32_e64 s2, s21, v8
	v_cndmask_b32_e64 v13, 0, -1, vcc_lo
	v_cmp_le_u32_e32 vcc_lo, s21, v10
	v_cndmask_b32_e64 v14, 0, -1, vcc_lo
	v_cmp_le_u32_e32 vcc_lo, s20, v7
	;; [unrolled: 2-line block ×3, first 2 shown]
	v_cndmask_b32_e64 v15, 0, -1, vcc_lo
	v_cmp_eq_u32_e32 vcc_lo, s21, v10
	s_delay_alu instid0(VALU_DEP_2) | instskip(SKIP_3) | instid1(VALU_DEP_3)
	v_cndmask_b32_e64 v7, v15, v7, s2
	v_cndmask_b32_e32 v10, v14, v13, vcc_lo
	v_add_co_u32 v13, vcc_lo, v2, 1
	v_add_co_ci_u32_e32 v14, vcc_lo, 0, v9, vcc_lo
	v_cmp_ne_u32_e32 vcc_lo, 0, v10
	s_delay_alu instid0(VALU_DEP_2) | instskip(NEXT) | instid1(VALU_DEP_4)
	v_cndmask_b32_e32 v8, v14, v12, vcc_lo
	v_cndmask_b32_e32 v10, v13, v11, vcc_lo
	v_cmp_ne_u32_e32 vcc_lo, 0, v7
	s_delay_alu instid0(VALU_DEP_2)
	v_dual_cndmask_b32 v7, v2, v10 :: v_dual_cndmask_b32 v8, v9, v8
.LBB0_4:                                ;   in Loop: Header=BB0_2 Depth=1
	s_and_not1_saveexec_b32 s2, s3
	s_cbranch_execz .LBB0_6
; %bb.5:                                ;   in Loop: Header=BB0_2 Depth=1
	v_cvt_f32_u32_e32 v2, s20
	s_sub_i32 s3, 0, s20
	s_delay_alu instid0(VALU_DEP_1) | instskip(SKIP_2) | instid1(VALU_DEP_1)
	v_rcp_iflag_f32_e32 v2, v2
	s_waitcnt_depctr 0xfff
	v_mul_f32_e32 v2, 0x4f7ffffe, v2
	v_cvt_u32_f32_e32 v2, v2
	s_delay_alu instid0(VALU_DEP_1) | instskip(NEXT) | instid1(VALU_DEP_1)
	v_mul_lo_u32 v7, s3, v2
	v_mul_hi_u32 v7, v2, v7
	s_delay_alu instid0(VALU_DEP_1) | instskip(NEXT) | instid1(VALU_DEP_1)
	v_add_nc_u32_e32 v2, v2, v7
	v_mul_hi_u32 v2, v5, v2
	s_delay_alu instid0(VALU_DEP_1) | instskip(SKIP_1) | instid1(VALU_DEP_2)
	v_mul_lo_u32 v7, v2, s20
	v_add_nc_u32_e32 v8, 1, v2
	v_sub_nc_u32_e32 v7, v5, v7
	s_delay_alu instid0(VALU_DEP_1) | instskip(SKIP_1) | instid1(VALU_DEP_2)
	v_subrev_nc_u32_e32 v9, s20, v7
	v_cmp_le_u32_e32 vcc_lo, s20, v7
	v_dual_cndmask_b32 v7, v7, v9 :: v_dual_cndmask_b32 v2, v2, v8
	s_delay_alu instid0(VALU_DEP_1) | instskip(NEXT) | instid1(VALU_DEP_2)
	v_cmp_le_u32_e32 vcc_lo, s20, v7
	v_add_nc_u32_e32 v8, 1, v2
	s_delay_alu instid0(VALU_DEP_1)
	v_dual_cndmask_b32 v7, v2, v8 :: v_dual_mov_b32 v8, v1
.LBB0_6:                                ;   in Loop: Header=BB0_2 Depth=1
	s_or_b32 exec_lo, exec_lo, s2
	s_load_b64 s[2:3], s[14:15], 0x0
	s_delay_alu instid0(VALU_DEP_1) | instskip(NEXT) | instid1(VALU_DEP_2)
	v_mul_lo_u32 v2, v8, s20
	v_mul_lo_u32 v11, v7, s21
	v_mad_u64_u32 v[9:10], null, v7, s20, 0
	s_add_u32 s18, s18, 1
	s_addc_u32 s19, s19, 0
	s_add_u32 s14, s14, 8
	s_addc_u32 s15, s15, 0
	;; [unrolled: 2-line block ×3, first 2 shown]
	s_delay_alu instid0(VALU_DEP_1) | instskip(SKIP_1) | instid1(VALU_DEP_2)
	v_add3_u32 v2, v10, v11, v2
	v_sub_co_u32 v9, vcc_lo, v5, v9
	v_sub_co_ci_u32_e32 v2, vcc_lo, v6, v2, vcc_lo
	s_waitcnt lgkmcnt(0)
	s_delay_alu instid0(VALU_DEP_2) | instskip(NEXT) | instid1(VALU_DEP_2)
	v_mul_lo_u32 v10, s3, v9
	v_mul_lo_u32 v2, s2, v2
	v_mad_u64_u32 v[5:6], null, s2, v9, v[3:4]
	v_cmp_ge_u64_e64 s2, s[18:19], s[6:7]
	s_delay_alu instid0(VALU_DEP_1) | instskip(NEXT) | instid1(VALU_DEP_2)
	s_and_b32 vcc_lo, exec_lo, s2
	v_add3_u32 v4, v10, v6, v2
	s_delay_alu instid0(VALU_DEP_3)
	v_mov_b32_e32 v3, v5
	s_cbranch_vccnz .LBB0_9
; %bb.7:                                ;   in Loop: Header=BB0_2 Depth=1
	v_dual_mov_b32 v5, v7 :: v_dual_mov_b32 v6, v8
	s_branch .LBB0_2
.LBB0_8:
	v_dual_mov_b32 v8, v6 :: v_dual_mov_b32 v7, v5
.LBB0_9:
	s_lshl_b64 s[2:3], s[6:7], 3
	v_mul_hi_u32 v5, 0x15e75bc, v0
	s_add_u32 s2, s12, s2
	s_addc_u32 s3, s13, s3
                                        ; implicit-def: $vgpr44_vgpr45
                                        ; implicit-def: $vgpr52_vgpr53
                                        ; implicit-def: $vgpr56_vgpr57
                                        ; implicit-def: $vgpr72_vgpr73
                                        ; implicit-def: $vgpr12_vgpr13
                                        ; implicit-def: $vgpr16_vgpr17
                                        ; implicit-def: $vgpr24_vgpr25
                                        ; implicit-def: $vgpr28_vgpr29
                                        ; implicit-def: $vgpr32_vgpr33
                                        ; implicit-def: $vgpr40_vgpr41
                                        ; implicit-def: $vgpr36_vgpr37
                                        ; implicit-def: $vgpr48_vgpr49
                                        ; implicit-def: $vgpr60_vgpr61
                                        ; implicit-def: $vgpr64_vgpr65
                                        ; implicit-def: $vgpr68_vgpr69
                                        ; implicit-def: $vgpr20_vgpr21
	s_load_b64 s[2:3], s[2:3], 0x0
	s_load_b64 s[0:1], s[0:1], 0x20
	s_waitcnt lgkmcnt(0)
	v_mul_lo_u32 v6, s2, v8
	v_mul_lo_u32 v9, s3, v7
	v_mad_u64_u32 v[1:2], null, s2, v7, v[3:4]
	v_mul_u32_u24_e32 v3, 0xbb, v5
	v_cmp_gt_u64_e32 vcc_lo, s[0:1], v[7:8]
	s_delay_alu instid0(VALU_DEP_2) | instskip(NEXT) | instid1(VALU_DEP_4)
	v_sub_nc_u32_e32 v124, v0, v3
	v_add3_u32 v2, v9, v2, v6
                                        ; implicit-def: $vgpr8_vgpr9
	s_delay_alu instid0(VALU_DEP_2) | instskip(NEXT) | instid1(VALU_DEP_2)
	v_cmp_gt_u32_e64 s0, 0x58, v124
	v_lshlrev_b64 v[90:91], 4, v[1:2]
	s_delay_alu instid0(VALU_DEP_2) | instskip(NEXT) | instid1(SALU_CYCLE_1)
	s_and_b32 s1, vcc_lo, s0
	s_and_saveexec_b32 s2, s1
	s_cbranch_execz .LBB0_11
; %bb.10:
	v_add_nc_u32_e32 v11, 0x58, v124
	v_mad_u64_u32 v[0:1], null, s8, v124, 0
	v_add_co_u32 v17, s1, s10, v90
	s_delay_alu instid0(VALU_DEP_3)
	v_mad_u64_u32 v[2:3], null, s8, v11, 0
	v_add_nc_u32_e32 v12, 0xb0, v124
	v_add_co_ci_u32_e64 v22, s1, s11, v91, s1
	v_add_nc_u32_e32 v16, 0x210, v124
	v_add_nc_u32_e32 v24, 0x528, v124
	v_or_b32_e32 v25, 0x580, v124
	v_mad_u64_u32 v[4:5], null, s9, v124, v[1:2]
	v_mov_b32_e32 v1, v3
	v_mad_u64_u32 v[5:6], null, s8, v12, 0
	v_add_nc_u32_e32 v14, 0x108, v124
	v_add_nc_u32_e32 v23, 0x370, v124
	s_delay_alu instid0(VALU_DEP_4) | instskip(SKIP_1) | instid1(VALU_DEP_4)
	v_mad_u64_u32 v[9:10], null, s9, v11, v[1:2]
	v_mov_b32_e32 v1, v4
	v_mad_u64_u32 v[7:8], null, s8, v14, 0
	v_mov_b32_e32 v4, v6
	s_delay_alu instid0(VALU_DEP_3) | instskip(SKIP_1) | instid1(VALU_DEP_3)
	v_lshlrev_b64 v[0:1], 4, v[0:1]
	v_mov_b32_e32 v3, v9
	v_mad_u64_u32 v[9:10], null, s9, v12, v[4:5]
	v_add_nc_u32_e32 v15, 0x160, v124
	s_delay_alu instid0(VALU_DEP_3) | instskip(SKIP_1) | instid1(VALU_DEP_1)
	v_lshlrev_b64 v[2:3], 4, v[2:3]
	v_add_co_u32 v0, s1, v17, v0
	v_add_co_ci_u32_e64 v1, s1, v22, v1, s1
	v_mov_b32_e32 v6, v9
	v_mad_u64_u32 v[12:13], null, s9, v14, v[8:9]
	v_add_co_u32 v2, s1, v17, v2
	v_mad_u64_u32 v[10:11], null, s8, v15, 0
	v_add_nc_u32_e32 v9, 0x1b8, v124
	v_add_co_ci_u32_e64 v3, s1, v22, v3, s1
	v_mov_b32_e32 v8, v12
	s_clause 0x1
	global_load_b128 v[18:21], v[0:1], off
	global_load_b128 v[42:45], v[2:3], off
	v_mad_u64_u32 v[3:4], null, s8, v9, 0
	v_mov_b32_e32 v2, v11
	v_lshlrev_b64 v[0:1], 4, v[5:6]
	s_delay_alu instid0(VALU_DEP_2) | instskip(NEXT) | instid1(VALU_DEP_4)
	v_mad_u64_u32 v[5:6], null, s9, v15, v[2:3]
	v_mov_b32_e32 v2, v4
	v_lshlrev_b64 v[6:7], 4, v[7:8]
	s_delay_alu instid0(VALU_DEP_4) | instskip(NEXT) | instid1(VALU_DEP_1)
	v_add_co_u32 v0, s1, v17, v0
	v_add_co_ci_u32_e64 v1, s1, v22, v1, s1
	v_mov_b32_e32 v11, v5
	v_mad_u64_u32 v[4:5], null, s9, v9, v[2:3]
	v_mad_u64_u32 v[8:9], null, s8, v16, 0
	v_add_co_u32 v5, s1, v17, v6
	s_delay_alu instid0(VALU_DEP_1) | instskip(SKIP_4) | instid1(VALU_DEP_4)
	v_add_co_ci_u32_e64 v6, s1, v22, v7, s1
	v_add_nc_u32_e32 v7, 0x268, v124
	v_lshlrev_b64 v[10:11], 4, v[10:11]
	v_mov_b32_e32 v2, v9
	v_lshlrev_b64 v[3:4], 4, v[3:4]
	v_mad_u64_u32 v[12:13], null, s8, v7, 0
	s_delay_alu instid0(VALU_DEP_4) | instskip(NEXT) | instid1(VALU_DEP_3)
	v_add_co_u32 v10, s1, v17, v10
	v_mad_u64_u32 v[14:15], null, s9, v16, v[2:3]
	v_add_co_ci_u32_e64 v11, s1, v22, v11, s1
	s_delay_alu instid0(VALU_DEP_4) | instskip(SKIP_4) | instid1(VALU_DEP_4)
	v_mov_b32_e32 v2, v13
	v_add_co_u32 v3, s1, v17, v3
	v_add_nc_u32_e32 v16, 0x2c0, v124
	v_add_co_ci_u32_e64 v4, s1, v22, v4, s1
	v_mov_b32_e32 v9, v14
	v_mad_u64_u32 v[13:14], null, s9, v7, v[2:3]
	s_delay_alu instid0(VALU_DEP_4)
	v_mad_u64_u32 v[14:15], null, s8, v16, 0
	s_clause 0x3
	global_load_b128 v[66:69], v[0:1], off
	global_load_b128 v[50:53], v[5:6], off
	;; [unrolled: 1-line block ×4, first 2 shown]
	v_add_nc_u32_e32 v10, 0x318, v124
	v_lshlrev_b64 v[0:1], 4, v[8:9]
	v_lshlrev_b64 v[5:6], 4, v[12:13]
	s_delay_alu instid0(VALU_DEP_3) | instskip(SKIP_1) | instid1(VALU_DEP_4)
	v_mad_u64_u32 v[3:4], null, s8, v10, 0
	v_mov_b32_e32 v2, v15
	v_add_co_u32 v0, s1, v17, v0
	s_delay_alu instid0(VALU_DEP_1) | instskip(NEXT) | instid1(VALU_DEP_3)
	v_add_co_ci_u32_e64 v1, s1, v22, v1, s1
	v_mad_u64_u32 v[7:8], null, s9, v16, v[2:3]
	v_mov_b32_e32 v2, v4
	v_add_co_u32 v4, s1, v17, v5
	v_mad_u64_u32 v[8:9], null, s8, v23, 0
	v_add_co_ci_u32_e64 v5, s1, v22, v6, s1
	v_mov_b32_e32 v15, v7
	v_mad_u64_u32 v[6:7], null, s9, v10, v[2:3]
	v_add_nc_u32_e32 v16, 0x3c8, v124
	v_mov_b32_e32 v2, v9
	s_clause 0x1
	global_load_b128 v[70:73], v[0:1], off
	global_load_b128 v[58:61], v[4:5], off
	v_lshlrev_b64 v[0:1], 4, v[14:15]
	v_mad_u64_u32 v[10:11], null, s8, v16, 0
	v_mov_b32_e32 v4, v6
	v_mad_u64_u32 v[12:13], null, s9, v23, v[2:3]
	s_delay_alu instid0(VALU_DEP_4) | instskip(NEXT) | instid1(VALU_DEP_3)
	v_add_co_u32 v0, s1, v17, v0
	v_lshlrev_b64 v[3:4], 4, v[3:4]
	v_mov_b32_e32 v2, v11
	v_add_co_ci_u32_e64 v1, s1, v22, v1, s1
	v_dual_mov_b32 v9, v12 :: v_dual_add_nc_u32 v12, 0x420, v124
	s_delay_alu instid0(VALU_DEP_3) | instskip(SKIP_1) | instid1(VALU_DEP_3)
	v_mad_u64_u32 v[5:6], null, s9, v16, v[2:3]
	v_add_co_u32 v2, s1, v17, v3
	v_lshlrev_b64 v[6:7], 4, v[8:9]
	s_delay_alu instid0(VALU_DEP_4)
	v_mad_u64_u32 v[8:9], null, s8, v12, 0
	v_add_co_ci_u32_e64 v3, s1, v22, v4, s1
	v_mov_b32_e32 v11, v5
	s_clause 0x1
	global_load_b128 v[46:49], v[0:1], off
	global_load_b128 v[34:37], v[2:3], off
	v_add_nc_u32_e32 v16, 0x478, v124
	v_mov_b32_e32 v2, v9
	v_lshlrev_b64 v[3:4], 4, v[10:11]
	v_add_nc_u32_e32 v23, 0x4d0, v124
	v_add_co_u32 v0, s1, v17, v6
	s_delay_alu instid0(VALU_DEP_1) | instskip(NEXT) | instid1(VALU_DEP_4)
	v_add_co_ci_u32_e64 v1, s1, v22, v7, s1
	v_mad_u64_u32 v[5:6], null, s9, v12, v[2:3]
	v_mad_u64_u32 v[6:7], null, s8, v16, 0
	;; [unrolled: 1-line block ×3, first 2 shown]
	v_add_co_u32 v2, s1, v17, v3
	s_delay_alu instid0(VALU_DEP_1) | instskip(NEXT) | instid1(VALU_DEP_4)
	v_add_co_ci_u32_e64 v3, s1, v22, v4, s1
	v_dual_mov_b32 v9, v5 :: v_dual_mov_b32 v4, v7
	s_delay_alu instid0(VALU_DEP_4)
	v_mov_b32_e32 v5, v11
	v_mad_u64_u32 v[12:13], null, s8, v24, 0
	s_clause 0x1
	global_load_b128 v[38:41], v[0:1], off
	global_load_b128 v[30:33], v[2:3], off
	v_lshlrev_b64 v[1:2], 4, v[8:9]
	v_mad_u64_u32 v[14:15], null, s9, v16, v[4:5]
	v_mad_u64_u32 v[15:16], null, s9, v23, v[5:6]
	;; [unrolled: 1-line block ×3, first 2 shown]
	s_delay_alu instid0(VALU_DEP_3) | instskip(NEXT) | instid1(VALU_DEP_3)
	v_dual_mov_b32 v0, v13 :: v_dual_mov_b32 v7, v14
	v_mov_b32_e32 v11, v15
	s_delay_alu instid0(VALU_DEP_2) | instskip(NEXT) | instid1(VALU_DEP_4)
	v_mad_u64_u32 v[8:9], null, s9, v24, v[0:1]
	v_mov_b32_e32 v0, v5
	v_add_co_u32 v1, s1, v17, v1
	v_lshlrev_b64 v[5:6], 4, v[6:7]
	v_add_co_ci_u32_e64 v2, s1, v22, v2, s1
	s_delay_alu instid0(VALU_DEP_3) | instskip(SKIP_3) | instid1(VALU_DEP_1)
	v_mad_u64_u32 v[14:15], null, s9, v25, v[0:1]
	v_mov_b32_e32 v13, v8
	v_lshlrev_b64 v[9:10], 4, v[10:11]
	v_add_co_u32 v7, s1, v17, v5
	v_add_co_ci_u32_e64 v8, s1, v22, v6, s1
	v_mov_b32_e32 v5, v14
	v_lshlrev_b64 v[11:12], 4, v[12:13]
	v_add_co_u32 v9, s1, v17, v9
	s_delay_alu instid0(VALU_DEP_1) | instskip(NEXT) | instid1(VALU_DEP_4)
	v_add_co_ci_u32_e64 v10, s1, v22, v10, s1
	v_lshlrev_b64 v[3:4], 4, v[4:5]
	s_delay_alu instid0(VALU_DEP_4) | instskip(NEXT) | instid1(VALU_DEP_1)
	v_add_co_u32 v5, s1, v17, v11
	v_add_co_ci_u32_e64 v6, s1, v22, v12, s1
	s_delay_alu instid0(VALU_DEP_3) | instskip(NEXT) | instid1(VALU_DEP_1)
	v_add_co_u32 v3, s1, v17, v3
	v_add_co_ci_u32_e64 v4, s1, v22, v4, s1
	s_clause 0x4
	global_load_b128 v[26:29], v[1:2], off
	global_load_b128 v[22:25], v[7:8], off
	;; [unrolled: 1-line block ×5, first 2 shown]
.LBB0_11:
	s_or_b32 exec_lo, exec_lo, s2
	s_waitcnt vmcnt(0)
	v_add_f64 v[4:5], v[44:45], -v[8:9]
	s_mov_b32 s18, 0xacd6c6b4
	s_mov_b32 s22, 0x4363dd80
	;; [unrolled: 1-line block ×4, first 2 shown]
	v_add_f64 v[76:77], v[42:43], v[6:7]
	v_add_f64 v[74:75], v[68:69], -v[12:13]
	s_mov_b32 s12, 0x7faef3
	s_mov_b32 s44, 0x5d8e7cdc
	;; [unrolled: 1-line block ×8, first 2 shown]
	v_add_f64 v[122:123], v[10:11], v[66:67]
	v_add_f64 v[104:105], v[52:53], -v[16:17]
	s_mov_b32 s14, 0x370991
	s_mov_b32 s26, 0x2b2883cd
	;; [unrolled: 1-line block ×6, first 2 shown]
	v_add_f64 v[118:119], v[50:51], v[14:15]
	v_add_f64 v[98:99], v[56:57], -v[24:25]
	s_mov_b32 s30, 0x2a9d6da3
	s_mov_b32 s40, 0x6c9a05f6
	;; [unrolled: 1-line block ×6, first 2 shown]
	v_add_f64 v[114:115], v[54:55], v[22:23]
	v_add_f64 v[88:89], v[64:65], -v[28:29]
	s_mov_b32 s6, 0x75d4884
	s_mov_b32 s16, 0x6ed5f1bb
	s_mov_b32 s7, 0x3fe7a5f6
	s_mov_b32 s17, 0xbfe348c8
	s_mov_b32 s39, 0xbfe9895b
	v_mul_f64 v[0:1], v[4:5], s[18:19]
	v_mul_f64 v[120:121], v[4:5], s[22:23]
	s_mov_b32 s43, 0xbfd71e95
	s_mov_b32 s38, s40
	;; [unrolled: 1-line block ×3, first 2 shown]
	v_add_f64 v[110:111], v[26:27], v[62:63]
	v_mul_f64 v[2:3], v[74:75], s[44:45]
	v_mul_f64 v[116:117], v[74:75], s[28:29]
	v_add_f64 v[106:107], v[70:71], v[30:31]
	s_mov_b32 s34, 0x923c349f
	s_mov_b32 s35, 0xbfeec746
	;; [unrolled: 1-line block ×6, first 2 shown]
	v_mul_f64 v[82:83], v[104:105], s[22:23]
	v_mul_f64 v[112:113], v[104:105], s[46:47]
	v_mul_f64 v[92:93], v[98:99], s[30:31]
	v_mul_f64 v[108:109], v[98:99], s[40:41]
	v_mul_f64 v[102:103], v[88:89], s[42:43]
	v_fma_f64 v[78:79], v[76:77], s[12:13], v[0:1]
	v_fma_f64 v[0:1], v[76:77], s[12:13], -v[0:1]
	v_fma_f64 v[80:81], v[76:77], s[24:25], -v[120:121]
	v_fma_f64 v[84:85], v[122:123], s[14:15], v[2:3]
	v_fma_f64 v[2:3], v[122:123], s[14:15], -v[2:3]
	v_fma_f64 v[86:87], v[122:123], s[26:27], -v[116:117]
	;; [unrolled: 3-line block ×4, first 2 shown]
	v_fma_f64 v[129:130], v[110:111], s[14:15], -v[102:103]
	v_add_f64 v[78:79], v[78:79], v[18:19]
	v_add_f64 v[0:1], v[0:1], v[18:19]
	v_add_f64 v[80:81], v[80:81], v[18:19]
	s_delay_alu instid0(VALU_DEP_3) | instskip(NEXT) | instid1(VALU_DEP_3)
	v_add_f64 v[78:79], v[84:85], v[78:79]
	v_add_f64 v[0:1], v[2:3], v[0:1]
	s_delay_alu instid0(VALU_DEP_3)
	v_add_f64 v[2:3], v[86:87], v[80:81]
	v_add_f64 v[84:85], v[72:73], -v[32:33]
	v_mul_f64 v[86:87], v[88:89], s[38:39]
	v_add_f64 v[80:81], v[60:61], -v[40:41]
	v_add_f64 v[78:79], v[94:95], v[78:79]
	v_add_f64 v[0:1], v[82:83], v[0:1]
	;; [unrolled: 1-line block ×3, first 2 shown]
	v_mul_f64 v[82:83], v[84:85], s[28:29]
	v_mul_f64 v[96:97], v[84:85], s[18:19]
	v_fma_f64 v[94:95], v[110:111], s[16:17], v[86:87]
	v_fma_f64 v[127:128], v[110:111], s[16:17], -v[86:87]
	v_mul_f64 v[86:87], v[80:81], s[30:31]
	v_add_f64 v[131:132], v[100:101], v[78:79]
	v_add_f64 v[0:1], v[92:93], v[0:1]
	;; [unrolled: 1-line block ×4, first 2 shown]
	v_add_f64 v[78:79], v[48:49], -v[36:37]
	v_mul_f64 v[92:93], v[80:81], s[34:35]
	v_fma_f64 v[125:126], v[106:107], s[26:27], v[82:83]
	v_fma_f64 v[133:134], v[106:107], s[26:27], -v[82:83]
	v_fma_f64 v[135:136], v[106:107], s[12:13], -v[96:97]
	v_add_f64 v[131:132], v[94:95], v[131:132]
	v_add_f64 v[0:1], v[127:128], v[0:1]
	;; [unrolled: 1-line block ×4, first 2 shown]
	v_mul_f64 v[127:128], v[78:79], s[36:37]
	v_mul_f64 v[82:83], v[78:79], s[34:35]
	v_fma_f64 v[129:130], v[100:101], s[2:3], v[92:93]
	v_fma_f64 v[92:93], v[100:101], s[2:3], -v[92:93]
	v_fma_f64 v[137:138], v[100:101], s[6:7], -v[86:87]
	v_add_f64 v[125:126], v[125:126], v[131:132]
	v_add_f64 v[0:1], v[133:134], v[0:1]
	;; [unrolled: 1-line block ×3, first 2 shown]
	v_fma_f64 v[131:132], v[94:95], s[20:21], v[127:128]
	v_fma_f64 v[127:128], v[94:95], s[20:21], -v[127:128]
	v_fma_f64 v[133:134], v[94:95], s[2:3], -v[82:83]
	v_add_f64 v[125:126], v[129:130], v[125:126]
	v_add_f64 v[92:93], v[92:93], v[0:1]
	;; [unrolled: 1-line block ×3, first 2 shown]
	s_delay_alu instid0(VALU_DEP_3) | instskip(NEXT) | instid1(VALU_DEP_3)
	v_add_f64 v[0:1], v[131:132], v[125:126]
	v_add_f64 v[2:3], v[127:128], v[92:93]
	s_delay_alu instid0(VALU_DEP_3)
	v_add_f64 v[92:93], v[133:134], v[129:130]
	s_and_saveexec_b32 s1, s0
	s_cbranch_execz .LBB0_13
; %bb.12:
	v_add_f64 v[125:126], v[42:43], v[18:19]
	v_mul_f64 v[127:128], v[76:77], s[24:25]
	v_mul_f64 v[129:130], v[76:77], s[16:17]
	;; [unrolled: 1-line block ×7, first 2 shown]
	s_mov_b32 s57, 0x3feec746
	s_mov_b32 s56, s34
	v_mul_f64 v[139:140], v[122:123], s[26:27]
	v_mul_f64 v[141:142], v[122:123], s[2:3]
	;; [unrolled: 1-line block ×7, first 2 shown]
	s_mov_b32 s49, 0xbfeca52d
	s_mov_b32 s48, s28
	;; [unrolled: 1-line block ×8, first 2 shown]
	v_mul_f64 v[161:162], v[118:119], s[14:15]
	v_mul_f64 v[163:164], v[118:119], s[6:7]
	;; [unrolled: 1-line block ×9, first 2 shown]
	v_add_f64 v[125:126], v[66:67], v[125:126]
	v_add_f64 v[120:121], v[120:121], v[127:128]
	v_fma_f64 v[127:128], v[4:5], s[40:41], v[129:130]
	v_fma_f64 v[129:130], v[4:5], s[38:39], v[129:130]
	;; [unrolled: 1-line block ×12, first 2 shown]
	v_mul_f64 v[76:77], v[118:119], s[20:21]
	v_mul_f64 v[118:119], v[118:119], s[26:27]
	v_add_f64 v[116:117], v[116:117], v[139:140]
	v_fma_f64 v[139:140], v[74:75], s[34:35], v[141:142]
	v_fma_f64 v[141:142], v[74:75], s[56:57], v[141:142]
	;; [unrolled: 1-line block ×20, first 2 shown]
	v_add_f64 v[125:126], v[50:51], v[125:126]
	v_add_f64 v[120:121], v[120:121], v[18:19]
	;; [unrolled: 1-line block ×14, first 2 shown]
	v_mul_f64 v[18:19], v[114:115], s[16:17]
	v_mul_f64 v[159:160], v[114:115], s[24:25]
	;; [unrolled: 1-line block ×3, first 2 shown]
	v_add_f64 v[76:77], v[112:113], v[76:77]
	v_fma_f64 v[112:113], v[104:105], s[44:45], v[161:162]
	v_fma_f64 v[161:162], v[104:105], s[42:43], v[161:162]
	;; [unrolled: 1-line block ×4, first 2 shown]
	v_add_f64 v[125:126], v[54:55], v[125:126]
	v_add_f64 v[116:117], v[116:117], v[120:121]
	;; [unrolled: 1-line block ×14, first 2 shown]
	v_mul_f64 v[141:142], v[110:111], s[14:15]
	v_mul_f64 v[143:144], v[110:111], s[20:21]
	;; [unrolled: 1-line block ×7, first 2 shown]
	v_add_f64 v[18:19], v[108:109], v[18:19]
	v_fma_f64 v[108:109], v[98:99], s[54:55], v[159:160]
	v_fma_f64 v[153:154], v[98:99], s[22:23], v[159:160]
	;; [unrolled: 1-line block ×12, first 2 shown]
	v_add_f64 v[125:126], v[62:63], v[125:126]
	v_add_f64 v[76:77], v[76:77], v[116:117]
	;; [unrolled: 1-line block ×12, first 2 shown]
	v_mul_f64 v[133:134], v[106:107], s[12:13]
	v_add_f64 v[4:5], v[197:198], v[4:5]
	v_mul_f64 v[135:136], v[106:107], s[6:7]
	v_mul_f64 v[139:140], v[106:107], s[24:25]
	;; [unrolled: 1-line block ×4, first 2 shown]
	v_add_f64 v[102:103], v[102:103], v[141:142]
	v_fma_f64 v[141:142], v[88:89], s[46:47], v[143:144]
	v_fma_f64 v[143:144], v[88:89], s[36:37], v[143:144]
	;; [unrolled: 1-line block ×9, first 2 shown]
	v_add_f64 v[125:126], v[70:71], v[125:126]
	v_add_f64 v[18:19], v[18:19], v[76:77]
	;; [unrolled: 1-line block ×4, first 2 shown]
	v_mul_f64 v[153:154], v[100:101], s[20:21]
	v_add_f64 v[112:113], v[157:158], v[118:119]
	v_add_f64 v[114:115], v[171:172], v[120:121]
	;; [unrolled: 1-line block ×3, first 2 shown]
	v_mul_f64 v[127:128], v[100:101], s[12:13]
	v_add_f64 v[74:75], v[98:99], v[74:75]
	v_add_f64 v[120:121], v[175:176], v[129:130]
	v_mul_f64 v[129:130], v[100:101], s[14:15]
	v_add_f64 v[4:5], v[181:182], v[4:5]
	v_add_f64 v[96:97], v[96:97], v[133:134]
	v_fma_f64 v[133:134], v[84:85], s[30:31], v[135:136]
	v_fma_f64 v[135:136], v[84:85], s[50:51], v[135:136]
	;; [unrolled: 1-line block ×6, first 2 shown]
	v_add_f64 v[125:126], v[58:59], v[125:126]
	v_add_f64 v[18:19], v[102:103], v[18:19]
	;; [unrolled: 1-line block ×4, first 2 shown]
	v_mul_f64 v[141:142], v[94:95], s[6:7]
	v_add_f64 v[108:109], v[145:146], v[112:113]
	v_mul_f64 v[143:144], v[94:95], s[24:25]
	v_mul_f64 v[145:146], v[94:95], s[14:15]
	v_add_f64 v[4:5], v[185:186], v[4:5]
	v_add_f64 v[125:126], v[46:47], v[125:126]
	;; [unrolled: 1-line block ×5, first 2 shown]
	v_fma_f64 v[133:134], v[78:79], s[54:55], v[143:144]
	v_fma_f64 v[135:136], v[78:79], s[22:23], v[143:144]
	v_add_f64 v[125:126], v[34:35], v[125:126]
	s_delay_alu instid0(VALU_DEP_1) | instskip(NEXT) | instid1(VALU_DEP_1)
	v_add_f64 v[125:126], v[38:39], v[125:126]
	v_add_f64 v[104:105], v[30:31], v[125:126]
	;; [unrolled: 1-line block ×3, first 2 shown]
	v_mul_f64 v[137:138], v[106:107], s[20:21]
	v_mul_f64 v[106:107], v[106:107], s[16:17]
	v_fma_f64 v[169:170], v[88:89], s[50:51], v[149:150]
	v_fma_f64 v[149:150], v[88:89], s[30:31], v[149:150]
	;; [unrolled: 1-line block ×3, first 2 shown]
	v_add_f64 v[110:111], v[155:156], v[116:117]
	v_add_f64 v[116:117], v[159:160], v[122:123]
	;; [unrolled: 1-line block ×3, first 2 shown]
	v_mul_f64 v[131:132], v[100:101], s[16:17]
	v_mul_f64 v[155:156], v[100:101], s[26:27]
	v_fma_f64 v[159:160], v[84:85], s[54:55], v[139:140]
	v_fma_f64 v[139:140], v[84:85], s[22:23], v[139:140]
	v_add_f64 v[98:99], v[26:27], v[104:105]
	v_add_f64 v[104:105], v[179:180], v[125:126]
	v_mul_f64 v[125:126], v[100:101], s[6:7]
	v_mul_f64 v[100:101], v[100:101], s[24:25]
	v_fma_f64 v[157:158], v[84:85], s[46:47], v[137:138]
	v_fma_f64 v[137:138], v[84:85], s[36:37], v[137:138]
	v_fma_f64 v[175:176], v[84:85], s[40:41], v[106:107]
	v_fma_f64 v[84:85], v[84:85], s[38:39], v[106:107]
	v_add_f64 v[106:107], v[165:166], v[110:111]
	v_add_f64 v[110:111], v[147:148], v[114:115]
	;; [unrolled: 1-line block ×7, first 2 shown]
	v_mul_f64 v[120:121], v[94:95], s[26:27]
	v_mul_f64 v[122:123], v[94:95], s[16:17]
	v_fma_f64 v[147:148], v[80:81], s[44:45], v[129:130]
	v_fma_f64 v[129:130], v[80:81], s[42:43], v[129:130]
	;; [unrolled: 1-line block ×6, first 2 shown]
	v_add_f64 v[88:89], v[22:23], v[98:99]
	v_add_f64 v[98:99], v[151:152], v[104:105]
	v_mul_f64 v[104:105], v[94:95], s[2:3]
	v_mul_f64 v[94:95], v[94:95], s[12:13]
	v_add_f64 v[86:87], v[86:87], v[125:126]
	v_fma_f64 v[125:126], v[80:81], s[52:53], v[127:128]
	v_fma_f64 v[127:128], v[80:81], s[18:19], v[127:128]
	;; [unrolled: 1-line block ×6, first 2 shown]
	v_add_f64 v[100:101], v[157:158], v[106:107]
	v_add_f64 v[102:103], v[137:138], v[108:109]
	;; [unrolled: 1-line block ×9, first 2 shown]
	v_fma_f64 v[116:117], v[78:79], s[40:41], v[122:123]
	v_fma_f64 v[118:119], v[78:79], s[38:39], v[122:123]
	;; [unrolled: 1-line block ×5, first 2 shown]
	v_add_f64 v[84:85], v[14:15], v[88:89]
	v_add_f64 v[88:89], v[163:164], v[98:99]
	;; [unrolled: 1-line block ×3, first 2 shown]
	v_fma_f64 v[98:99], v[78:79], s[48:49], v[120:121]
	v_fma_f64 v[104:105], v[78:79], s[28:29], v[120:121]
	v_fma_f64 v[120:121], v[78:79], s[50:51], v[141:142]
	v_fma_f64 v[141:142], v[78:79], s[52:53], v[94:95]
	v_fma_f64 v[78:79], v[78:79], s[18:19], v[94:95]
	v_add_f64 v[18:19], v[86:87], v[18:19]
	v_add_f64 v[86:87], v[127:128], v[96:97]
	;; [unrolled: 1-line block ×28, first 2 shown]
	v_mad_u32_u24 v84, 0x88, v124, 0
	ds_store_2addr_b64 v84, v[94:95], v[88:89] offset0:4 offset1:5
	ds_store_2addr_b64 v84, v[82:83], v[18:19] offset0:6 offset1:7
	;; [unrolled: 1-line block ×6, first 2 shown]
	ds_store_2addr_b64 v84, v[78:79], v[74:75] offset1:1
	ds_store_2addr_b64 v84, v[80:81], v[100:101] offset0:2 offset1:3
	ds_store_b64 v84, v[4:5] offset:128
.LBB0_13:
	s_or_b32 exec_lo, exec_lo, s1
	v_add_f64 v[118:119], v[42:43], -v[6:7]
	v_add_f64 v[114:115], v[66:67], -v[10:11]
	v_add_f64 v[112:113], v[44:45], v[8:9]
	v_add_f64 v[108:109], v[50:51], -v[14:15]
	v_add_f64 v[106:107], v[12:13], v[68:69]
	v_add_f64 v[100:101], v[52:53], v[16:17]
	v_add_f64 v[104:105], v[54:55], -v[22:23]
	v_add_f64 v[66:67], v[56:57], v[24:25]
	v_add_f64 v[98:99], v[62:63], -v[26:27]
	;; [unrolled: 2-line block ×3, first 2 shown]
	v_add_f64 v[30:31], v[72:73], v[32:33]
	s_waitcnt lgkmcnt(0)
	s_barrier
	buffer_gl0_inv
	v_mul_f64 v[116:117], v[118:119], s[22:23]
	v_mul_f64 v[4:5], v[118:119], s[18:19]
	;; [unrolled: 1-line block ×9, first 2 shown]
	v_fma_f64 v[10:11], v[112:113], s[24:25], v[116:117]
	v_fma_f64 v[14:15], v[112:113], s[12:13], -v[4:5]
	v_fma_f64 v[4:5], v[112:113], s[12:13], v[4:5]
	v_fma_f64 v[22:23], v[106:107], s[26:27], v[110:111]
	v_fma_f64 v[42:43], v[106:107], s[14:15], -v[6:7]
	v_fma_f64 v[6:7], v[106:107], s[14:15], v[6:7]
	;; [unrolled: 3-line block ×3, first 2 shown]
	v_fma_f64 v[70:71], v[66:67], s[6:7], -v[26:27]
	v_fma_f64 v[26:27], v[66:67], s[6:7], v[26:27]
	v_add_f64 v[10:11], v[10:11], v[20:21]
	v_add_f64 v[14:15], v[14:15], v[20:21]
	;; [unrolled: 1-line block ×3, first 2 shown]
	s_delay_alu instid0(VALU_DEP_3) | instskip(NEXT) | instid1(VALU_DEP_3)
	v_add_f64 v[10:11], v[10:11], v[22:23]
	v_add_f64 v[14:15], v[14:15], v[42:43]
	s_delay_alu instid0(VALU_DEP_3)
	v_add_f64 v[4:5], v[4:5], v[6:7]
	v_mul_f64 v[6:7], v[98:99], s[38:39]
	v_fma_f64 v[22:23], v[66:67], s[16:17], v[96:97]
	v_add_f64 v[42:43], v[58:59], -v[38:39]
	v_mul_f64 v[38:39], v[62:63], s[18:19]
	v_mul_f64 v[58:59], v[62:63], s[28:29]
	v_add_f64 v[10:11], v[74:75], v[10:11]
	v_add_f64 v[14:15], v[76:77], v[14:15]
	;; [unrolled: 1-line block ×3, first 2 shown]
	v_fma_f64 v[74:75], v[50:51], s[14:15], v[54:55]
	v_fma_f64 v[76:77], v[50:51], s[16:17], -v[6:7]
	v_fma_f64 v[6:7], v[50:51], s[16:17], v[6:7]
	v_add_f64 v[18:19], v[40:41], v[60:61]
	v_add_f64 v[10:11], v[22:23], v[10:11]
	;; [unrolled: 1-line block ×4, first 2 shown]
	v_add_f64 v[26:27], v[46:47], -v[34:35]
	v_mul_f64 v[22:23], v[42:43], s[30:31]
	v_mul_f64 v[34:35], v[42:43], s[34:35]
	v_fma_f64 v[46:47], v[30:31], s[12:13], v[38:39]
	v_fma_f64 v[70:71], v[30:31], s[26:27], -v[58:59]
	v_fma_f64 v[58:59], v[30:31], s[26:27], v[58:59]
	v_add_f64 v[74:75], v[74:75], v[10:11]
	v_add_f64 v[76:77], v[76:77], v[14:15]
	;; [unrolled: 1-line block ×4, first 2 shown]
	v_mul_f64 v[14:15], v[26:27], s[34:35]
	v_mul_f64 v[6:7], v[26:27], s[36:37]
	v_fma_f64 v[78:79], v[18:19], s[6:7], v[22:23]
	v_fma_f64 v[80:81], v[18:19], s[2:3], -v[34:35]
	v_fma_f64 v[34:35], v[18:19], s[2:3], v[34:35]
	v_add_f64 v[46:47], v[46:47], v[74:75]
	v_add_f64 v[70:71], v[70:71], v[76:77]
	;; [unrolled: 1-line block ×3, first 2 shown]
	v_fma_f64 v[58:59], v[10:11], s[2:3], v[14:15]
	v_fma_f64 v[74:75], v[10:11], s[20:21], -v[6:7]
	v_fma_f64 v[6:7], v[10:11], s[20:21], v[6:7]
	v_add_f64 v[46:47], v[78:79], v[46:47]
	v_add_f64 v[70:71], v[80:81], v[70:71]
	;; [unrolled: 1-line block ×3, first 2 shown]
	s_delay_alu instid0(VALU_DEP_3) | instskip(NEXT) | instid1(VALU_DEP_3)
	v_add_f64 v[94:95], v[58:59], v[46:47]
	v_add_f64 v[4:5], v[74:75], v[70:71]
	s_delay_alu instid0(VALU_DEP_3) | instskip(SKIP_1) | instid1(VALU_DEP_1)
	v_add_f64 v[6:7], v[6:7], v[34:35]
	v_lshl_add_u32 v58, v124, 3, 0
	v_add_nc_u32_e32 v34, 0xa00, v58
	v_add_nc_u32_e32 v35, 0x1600, v58
	v_add_nc_u32_e32 v46, 0x2200, v58
	ds_load_2addr_b64 v[78:81], v58 offset1:187
	ds_load_2addr_b64 v[86:89], v34 offset0:54 offset1:241
	ds_load_2addr_b64 v[74:77], v35 offset0:44 offset1:231
	;; [unrolled: 1-line block ×3, first 2 shown]
	s_waitcnt lgkmcnt(0)
	s_barrier
	buffer_gl0_inv
	s_and_saveexec_b32 s33, s0
	s_cbranch_execz .LBB0_15
; %bb.14:
	v_add_f64 v[44:45], v[44:45], v[20:21]
	s_mov_b32 s44, 0x2a9d6da3
	s_mov_b32 s38, 0xeb564b22
	;; [unrolled: 1-line block ×8, first 2 shown]
	v_mul_f64 v[70:71], v[118:119], s[38:39]
	v_mul_f64 v[120:121], v[118:119], s[30:31]
	s_mov_b32 s1, 0xbfeca52d
	s_mov_b32 s0, 0x7c9e640b
	v_mul_f64 v[122:123], v[100:101], s[20:21]
	s_mov_b32 s22, 0x370991
	s_mov_b32 s20, 0x75d4884
	;; [unrolled: 1-line block ×14, first 2 shown]
	v_mul_f64 v[125:126], v[114:115], s[38:39]
	v_mul_f64 v[127:128], v[114:115], s[30:31]
	;; [unrolled: 1-line block ×4, first 2 shown]
	s_mov_b32 s18, 0x2b2883cd
	s_mov_b32 s19, 0x3fdc86fa
	;; [unrolled: 1-line block ×6, first 2 shown]
	v_add_f64 v[44:45], v[68:69], v[44:45]
	v_mul_f64 v[68:69], v[118:119], s[44:45]
	s_mov_b32 s51, 0x3fc7851a
	s_mov_b32 s47, 0x3fe58eea
	;; [unrolled: 1-line block ×4, first 2 shown]
	v_mul_f64 v[145:146], v[108:109], s[50:51]
	v_mul_f64 v[147:148], v[108:109], s[52:53]
	s_mov_b32 s51, 0xbfe0d888
	v_fma_f64 v[135:136], v[112:113], s[28:29], -v[70:71]
	v_fma_f64 v[70:71], v[112:113], s[28:29], v[70:71]
	s_mov_b32 s50, s54
	v_mul_f64 v[159:160], v[104:105], s[0:1]
	v_mul_f64 v[161:162], v[104:105], s[52:53]
	v_add_f64 v[102:103], v[122:123], -v[102:103]
	v_fma_f64 v[149:150], v[106:107], s[28:29], -v[125:126]
	v_fma_f64 v[125:126], v[106:107], s[28:29], v[125:126]
	v_fma_f64 v[153:154], v[106:107], s[34:35], -v[129:130]
	v_fma_f64 v[129:130], v[106:107], s[34:35], v[129:130]
	;; [unrolled: 2-line block ×3, first 2 shown]
	v_add_f64 v[44:45], v[52:53], v[44:45]
	v_mul_f64 v[52:53], v[112:113], s[24:25]
	s_mov_b32 s24, 0x6ed5f1bb
	s_mov_b32 s25, 0xbfe348c8
	v_fma_f64 v[133:134], v[112:113], s[20:21], -v[68:69]
	v_fma_f64 v[68:69], v[112:113], s[20:21], v[68:69]
	v_fma_f64 v[139:140], v[112:113], s[24:25], -v[120:121]
	v_fma_f64 v[120:121], v[112:113], s[24:25], v[120:121]
	;; [unrolled: 2-line block ×3, first 2 shown]
	v_add_f64 v[70:71], v[70:71], v[20:21]
	v_fma_f64 v[169:170], v[100:101], s[34:35], -v[145:146]
	v_fma_f64 v[145:146], v[100:101], s[34:35], v[145:146]
	v_fma_f64 v[171:172], v[100:101], s[40:41], -v[147:148]
	v_fma_f64 v[147:148], v[100:101], s[40:41], v[147:148]
	v_add_f64 v[44:45], v[56:57], v[44:45]
	v_mul_f64 v[56:57], v[106:107], s[26:27]
	s_mov_b32 s26, 0x5d8e7cdc
	s_mov_b32 s27, 0xbfd71e95
	v_add_f64 v[52:53], v[52:53], -v[116:117]
	v_mul_f64 v[143:144], v[108:109], s[26:27]
	v_add_f64 v[68:69], v[68:69], v[20:21]
	v_add_f64 v[120:121], v[120:121], v[20:21]
	;; [unrolled: 1-line block ×3, first 2 shown]
	v_mul_f64 v[129:130], v[98:99], s[42:43]
	v_add_f64 v[44:45], v[64:65], v[44:45]
	v_mul_f64 v[64:65], v[118:119], s[26:27]
	v_add_f64 v[56:57], v[56:57], -v[110:111]
	v_add_f64 v[52:53], v[52:53], v[20:21]
	v_fma_f64 v[167:168], v[100:101], s[22:23], -v[143:144]
	v_fma_f64 v[143:144], v[100:101], s[22:23], v[143:144]
	v_add_f64 v[68:69], v[68:69], v[125:126]
	v_mul_f64 v[125:126], v[98:99], s[54:55]
	v_add_f64 v[70:71], v[147:148], v[70:71]
	v_add_f64 v[44:45], v[72:73], v[44:45]
	v_mul_f64 v[72:73], v[118:119], s[48:49]
	v_mul_f64 v[118:119], v[118:119], s[0:1]
	v_fma_f64 v[116:117], v[112:113], s[22:23], -v[64:65]
	v_fma_f64 v[64:65], v[112:113], s[22:23], v[64:65]
	v_add_f64 v[52:53], v[52:53], v[56:57]
	v_add_f64 v[44:45], v[60:61], v[44:45]
	v_mul_f64 v[59:60], v[114:115], s[44:45]
	v_mul_f64 v[114:115], v[114:115], s[52:53]
	v_fma_f64 v[137:138], v[112:113], s[40:41], -v[72:73]
	v_fma_f64 v[72:73], v[112:113], s[40:41], v[72:73]
	v_fma_f64 v[141:142], v[112:113], s[18:19], v[118:119]
	v_add_f64 v[52:53], v[102:103], v[52:53]
	v_add_f64 v[44:45], v[48:49], v[44:45]
	v_fma_f64 v[47:48], v[112:113], s[18:19], -v[118:119]
	v_mul_f64 v[112:113], v[108:109], s[0:1]
	v_mul_f64 v[118:119], v[108:109], s[30:31]
	;; [unrolled: 1-line block ×3, first 2 shown]
	v_fma_f64 v[110:111], v[106:107], s[20:21], -v[59:60]
	v_fma_f64 v[59:60], v[106:107], s[20:21], v[59:60]
	v_fma_f64 v[157:158], v[106:107], s[40:41], -v[114:115]
	v_fma_f64 v[106:107], v[106:107], s[40:41], v[114:115]
	v_add_f64 v[114:115], v[116:117], v[20:21]
	v_add_f64 v[116:117], v[133:134], v[20:21]
	v_add_f64 v[133:134], v[135:136], v[20:21]
	v_add_f64 v[135:136], v[137:138], v[20:21]
	v_add_f64 v[137:138], v[139:140], v[20:21]
	v_add_f64 v[72:73], v[72:73], v[20:21]
	v_add_f64 v[139:140], v[141:142], v[20:21]
	v_mul_f64 v[141:142], v[104:105], s[42:43]
	v_add_f64 v[36:37], v[36:37], v[44:45]
	v_add_f64 v[44:45], v[47:48], v[20:21]
	;; [unrolled: 1-line block ×3, first 2 shown]
	v_mul_f64 v[47:48], v[66:67], s[16:17]
	s_mov_b32 s17, 0x3fd71e95
	s_mov_b32 s16, s26
	v_mul_f64 v[64:65], v[104:105], s[38:39]
	v_mul_f64 v[163:164], v[104:105], s[16:17]
	;; [unrolled: 1-line block ×3, first 2 shown]
	v_fma_f64 v[122:123], v[100:101], s[18:19], -v[112:113]
	v_fma_f64 v[112:113], v[100:101], s[18:19], v[112:113]
	v_fma_f64 v[165:166], v[100:101], s[24:25], -v[118:119]
	v_fma_f64 v[118:119], v[100:101], s[24:25], v[118:119]
	v_fma_f64 v[173:174], v[100:101], s[20:21], -v[108:109]
	v_fma_f64 v[100:101], v[100:101], s[20:21], v[108:109]
	v_add_f64 v[56:57], v[114:115], v[110:111]
	v_add_f64 v[108:109], v[116:117], v[149:150]
	;; [unrolled: 1-line block ×8, first 2 shown]
	v_mul_f64 v[127:128], v[98:99], s[0:1]
	v_mul_f64 v[131:132], v[98:99], s[46:47]
	v_fma_f64 v[133:134], v[66:67], s[34:35], -v[141:142]
	v_fma_f64 v[135:136], v[66:67], s[34:35], v[141:142]
	v_fma_f64 v[137:138], v[66:67], s[18:19], -v[159:160]
	v_fma_f64 v[139:140], v[66:67], s[18:19], v[159:160]
	;; [unrolled: 2-line block ×3, first 2 shown]
	s_mov_b32 s1, 0x3feca52d
	v_add_f64 v[36:37], v[40:41], v[36:37]
	v_add_f64 v[40:41], v[44:45], v[151:152]
	;; [unrolled: 1-line block ×3, first 2 shown]
	v_mul_f64 v[44:45], v[50:51], s[14:15]
	s_mov_b32 s15, 0x3fefdd0d
	s_mov_b32 s14, s38
	v_mul_f64 v[59:60], v[98:99], s[48:49]
	v_mul_f64 v[98:99], v[98:99], s[14:15]
	v_add_f64 v[47:48], v[47:48], -v[96:97]
	v_fma_f64 v[96:97], v[66:67], s[28:29], -v[64:65]
	v_fma_f64 v[64:65], v[66:67], s[28:29], v[64:65]
	v_fma_f64 v[151:152], v[66:67], s[22:23], -v[163:164]
	v_fma_f64 v[153:154], v[66:67], s[22:23], v[163:164]
	;; [unrolled: 2-line block ×3, first 2 shown]
	v_add_f64 v[56:57], v[122:123], v[56:57]
	v_add_f64 v[102:103], v[165:166], v[108:109]
	;; [unrolled: 1-line block ×9, first 2 shown]
	v_mul_f64 v[114:115], v[62:63], s[26:27]
	v_mul_f64 v[116:117], v[62:63], s[44:45]
	;; [unrolled: 1-line block ×4, first 2 shown]
	v_fma_f64 v[122:123], v[50:51], s[36:37], -v[125:126]
	v_fma_f64 v[125:126], v[50:51], s[36:37], v[125:126]
	v_fma_f64 v[143:144], v[50:51], s[18:19], -v[127:128]
	v_fma_f64 v[127:128], v[50:51], s[18:19], v[127:128]
	v_fma_f64 v[145:146], v[50:51], s[34:35], -v[129:130]
	v_fma_f64 v[129:130], v[50:51], s[34:35], v[129:130]
	v_fma_f64 v[147:148], v[50:51], s[20:21], -v[131:132]
	v_fma_f64 v[131:132], v[50:51], s[20:21], v[131:132]
	v_add_f64 v[32:33], v[32:33], v[36:37]
	v_add_f64 v[36:37], v[169:170], v[40:41]
	;; [unrolled: 1-line block ×3, first 2 shown]
	v_mul_f64 v[40:41], v[30:31], s[12:13]
	v_mul_f64 v[112:113], v[62:63], s[30:31]
	;; [unrolled: 1-line block ×3, first 2 shown]
	v_add_f64 v[44:45], v[44:45], -v[54:55]
	v_fma_f64 v[54:55], v[50:51], s[40:41], -v[59:60]
	v_fma_f64 v[59:60], v[50:51], s[40:41], v[59:60]
	v_fma_f64 v[157:158], v[50:51], s[28:29], -v[98:99]
	v_fma_f64 v[49:50], v[50:51], s[28:29], v[98:99]
	v_add_f64 v[47:48], v[47:48], v[52:53]
	v_add_f64 v[70:71], v[153:154], v[70:71]
	;; [unrolled: 1-line block ×11, first 2 shown]
	v_mul_f64 v[104:105], v[42:43], s[26:27]
	v_mul_f64 v[106:107], v[42:43], s[42:43]
	;; [unrolled: 1-line block ×4, first 2 shown]
	v_fma_f64 v[133:134], v[30:31], s[22:23], -v[114:115]
	v_fma_f64 v[114:115], v[30:31], s[22:23], v[114:115]
	v_fma_f64 v[135:136], v[30:31], s[20:21], -v[116:117]
	v_fma_f64 v[116:117], v[30:31], s[20:21], v[116:117]
	;; [unrolled: 2-line block ×4, first 2 shown]
	v_add_f64 v[28:29], v[28:29], v[32:33]
	v_add_f64 v[32:33], v[141:142], v[36:37]
	;; [unrolled: 1-line block ×3, first 2 shown]
	v_mul_f64 v[36:37], v[18:19], s[6:7]
	s_mov_b32 s7, 0x3fe9895b
	s_mov_b32 s6, s30
	v_mul_f64 v[63:64], v[42:43], s[38:39]
	v_mul_f64 v[42:43], v[42:43], s[6:7]
	v_add_f64 v[38:39], v[40:41], -v[38:39]
	v_fma_f64 v[40:41], v[30:31], s[24:25], -v[112:113]
	v_fma_f64 v[112:113], v[30:31], s[24:25], v[112:113]
	v_fma_f64 v[141:142], v[30:31], s[28:29], -v[61:62]
	v_fma_f64 v[30:31], v[30:31], s[28:29], v[61:62]
	v_add_f64 v[44:45], v[44:45], v[47:48]
	v_add_f64 v[70:71], v[127:128], v[70:71]
	;; [unrolled: 1-line block ×11, first 2 shown]
	v_mul_f64 v[96:97], v[26:27], s[30:31]
	v_mul_f64 v[98:99], v[26:27], s[16:17]
	;; [unrolled: 1-line block ×4, first 2 shown]
	v_fma_f64 v[122:123], v[18:19], s[22:23], -v[104:105]
	v_fma_f64 v[104:105], v[18:19], s[22:23], v[104:105]
	v_fma_f64 v[125:126], v[18:19], s[34:35], -v[106:107]
	v_fma_f64 v[106:107], v[18:19], s[34:35], v[106:107]
	;; [unrolled: 2-line block ×4, first 2 shown]
	v_add_f64 v[24:25], v[24:25], v[28:29]
	v_add_f64 v[28:29], v[147:148], v[32:33]
	;; [unrolled: 1-line block ×3, first 2 shown]
	v_mul_f64 v[32:33], v[10:11], s[2:3]
	v_mul_f64 v[59:60], v[26:27], s[42:43]
	;; [unrolled: 1-line block ×3, first 2 shown]
	v_add_f64 v[22:23], v[36:37], -v[22:23]
	v_fma_f64 v[36:37], v[18:19], s[28:29], -v[63:64]
	v_fma_f64 v[63:64], v[18:19], s[28:29], v[63:64]
	v_fma_f64 v[131:132], v[18:19], s[24:25], -v[42:43]
	v_fma_f64 v[18:19], v[18:19], s[24:25], v[42:43]
	v_add_f64 v[38:39], v[38:39], v[44:45]
	v_add_f64 v[40:41], v[40:41], v[47:48]
	;; [unrolled: 1-line block ×11, first 2 shown]
	v_fma_f64 v[65:66], v[10:11], s[24:25], v[96:97]
	v_fma_f64 v[67:68], v[10:11], s[22:23], -v[98:99]
	v_fma_f64 v[69:70], v[10:11], s[22:23], v[98:99]
	v_fma_f64 v[71:72], v[10:11], s[36:37], -v[100:101]
	v_fma_f64 v[98:99], v[10:11], s[20:21], -v[102:103]
	v_add_f64 v[16:17], v[16:17], v[24:25]
	v_add_f64 v[24:25], v[133:134], v[28:29]
	;; [unrolled: 1-line block ×3, first 2 shown]
	v_add_f64 v[14:15], v[32:33], -v[14:15]
	v_fma_f64 v[28:29], v[10:11], s[34:35], -v[59:60]
	v_fma_f64 v[32:33], v[10:11], s[34:35], v[59:60]
	v_fma_f64 v[59:60], v[10:11], s[24:25], -v[96:97]
	v_fma_f64 v[96:97], v[10:11], s[36:37], v[100:101]
	v_fma_f64 v[100:101], v[10:11], s[20:21], v[102:103]
	v_fma_f64 v[102:103], v[10:11], s[18:19], -v[26:27]
	v_fma_f64 v[10:11], v[10:11], s[18:19], v[26:27]
	v_add_f64 v[22:23], v[22:23], v[38:39]
	v_add_f64 v[26:27], v[127:128], v[40:41]
	;; [unrolled: 1-line block ×28, first 2 shown]
	v_lshl_add_u32 v20, v124, 7, v58
	ds_store_2addr_b64 v20, v[28:29], v[36:37] offset0:4 offset1:5
	ds_store_2addr_b64 v20, v[38:39], v[14:15] offset0:6 offset1:7
	;; [unrolled: 1-line block ×6, first 2 shown]
	ds_store_2addr_b64 v20, v[8:9], v[22:23] offset1:1
	ds_store_2addr_b64 v20, v[24:25], v[12:13] offset0:2 offset1:3
	ds_store_b64 v20, v[16:17] offset:128
.LBB0_15:
	s_or_b32 exec_lo, exec_lo, s33
	v_and_b32_e32 v8, 0xff, v124
	s_waitcnt lgkmcnt(0)
	s_barrier
	buffer_gl0_inv
	s_mov_b32 s0, 0x667f3bcd
	v_mul_lo_u16 v8, 0xf1, v8
	s_mov_b32 s1, 0x3fe6a09e
	s_mov_b32 s3, 0xbfe6a09e
	;; [unrolled: 1-line block ×3, first 2 shown]
	s_delay_alu instid0(VALU_DEP_1) | instskip(NEXT) | instid1(VALU_DEP_1)
	v_lshrrev_b16 v71, 12, v8
	v_mul_lo_u16 v8, v71, 17
	s_delay_alu instid0(VALU_DEP_1) | instskip(NEXT) | instid1(VALU_DEP_1)
	v_sub_nc_u16 v8, v124, v8
	v_and_b32_e32 v72, 0xff, v8
	s_delay_alu instid0(VALU_DEP_1) | instskip(NEXT) | instid1(VALU_DEP_1)
	v_mul_u32_u24_e32 v8, 7, v72
	v_lshlrev_b32_e32 v28, 4, v8
	s_clause 0x6
	global_load_b128 v[8:11], v28, s[4:5]
	global_load_b128 v[16:19], v28, s[4:5] offset:16
	global_load_b128 v[20:23], v28, s[4:5] offset:32
	;; [unrolled: 1-line block ×6, first 2 shown]
	ds_load_2addr_b64 v[28:31], v58 offset1:187
	ds_load_2addr_b64 v[47:50], v34 offset0:54 offset1:241
	ds_load_2addr_b64 v[32:35], v35 offset0:44 offset1:231
	;; [unrolled: 1-line block ×3, first 2 shown]
	s_waitcnt vmcnt(0) lgkmcnt(0)
	s_barrier
	buffer_gl0_inv
	v_mul_f64 v[36:37], v[30:31], v[10:11]
	v_mul_f64 v[55:56], v[47:48], v[18:19]
	;; [unrolled: 1-line block ×13, first 2 shown]
	v_fma_f64 v[69:70], v[80:81], v[8:9], v[36:37]
	v_fma_f64 v[55:56], v[86:87], v[16:17], v[55:56]
	v_fma_f64 v[36:37], v[47:48], v[16:17], -v[18:19]
	v_fma_f64 v[16:17], v[88:89], v[20:21], v[59:60]
	v_fma_f64 v[18:19], v[49:50], v[20:21], -v[22:23]
	v_fma_f64 v[20:21], v[74:75], v[12:13], v[61:62]
	v_fma_f64 v[22:23], v[82:83], v[24:25], v[63:64]
	;; [unrolled: 1-line block ×3, first 2 shown]
	v_fma_f64 v[24:25], v[51:52], v[24:25], -v[26:27]
	v_fma_f64 v[26:27], v[84:85], v[42:43], v[67:68]
	v_fma_f64 v[42:43], v[53:54], v[42:43], -v[44:45]
	v_fma_f64 v[8:9], v[30:31], v[8:9], -v[10:11]
	;; [unrolled: 1-line block ×3, first 2 shown]
	v_add_f64 v[20:21], v[78:79], -v[20:21]
	v_add_f64 v[30:31], v[55:56], -v[22:23]
	;; [unrolled: 1-line block ×7, first 2 shown]
	v_fma_f64 v[44:45], v[78:79], 2.0, -v[20:21]
	v_fma_f64 v[38:39], v[55:56], 2.0, -v[30:31]
	v_fma_f64 v[46:47], v[69:70], 2.0, -v[22:23]
	v_add_f64 v[48:49], v[20:21], v[34:35]
	v_fma_f64 v[16:17], v[16:17], 2.0, -v[24:25]
	v_add_f64 v[50:51], v[22:23], v[26:27]
	v_fma_f64 v[40:41], v[8:9], 2.0, -v[10:11]
	v_fma_f64 v[8:9], v[18:19], 2.0, -v[26:27]
	v_add_f64 v[52:53], v[10:11], -v[24:25]
	v_add_f64 v[18:19], v[44:45], -v[38:39]
	v_fma_f64 v[54:55], v[20:21], 2.0, -v[48:49]
	v_add_f64 v[38:39], v[46:47], -v[16:17]
	v_fma_f64 v[56:57], v[22:23], 2.0, -v[50:51]
	;; [unrolled: 2-line block ×3, first 2 shown]
	v_fma_f64 v[8:9], v[50:51], s[0:1], v[48:49]
	v_fma_f64 v[10:11], v[44:45], 2.0, -v[18:19]
	v_fma_f64 v[16:17], v[46:47], 2.0, -v[38:39]
	v_fma_f64 v[26:27], v[56:57], s[2:3], v[54:55]
	v_mul_f64 v[46:47], v[50:51], s[0:1]
	v_mul_f64 v[50:51], v[52:53], s[0:1]
	v_add_f64 v[20:21], v[18:19], v[42:43]
	v_mul_f64 v[44:45], v[56:57], s[0:1]
	v_fma_f64 v[22:23], v[52:53], s[0:1], v[8:9]
	v_and_b32_e32 v52, 0xffff, v71
	v_lshlrev_b32_e32 v53, 3, v72
	s_delay_alu instid0(VALU_DEP_2) | instskip(NEXT) | instid1(VALU_DEP_1)
	v_mul_u32_u24_e32 v52, 0x440, v52
	v_add3_u32 v52, 0, v52, v53
	v_add_f64 v[24:25], v[10:11], -v[16:17]
	v_fma_f64 v[26:27], v[59:60], s[0:1], v[26:27]
	v_fma_f64 v[16:17], v[18:19], 2.0, -v[20:21]
	v_fma_f64 v[18:19], v[48:49], 2.0, -v[22:23]
	v_mul_f64 v[48:49], v[59:60], s[0:1]
	v_cmp_gt_u32_e64 s0, 0x88, v124
	v_fma_f64 v[8:9], v[10:11], 2.0, -v[24:25]
	v_fma_f64 v[10:11], v[54:55], 2.0, -v[26:27]
	ds_store_2addr_b64 v52, v[20:21], v[22:23] offset0:102 offset1:119
	ds_store_2addr_b64 v52, v[16:17], v[18:19] offset0:34 offset1:51
	;; [unrolled: 1-line block ×3, first 2 shown]
	ds_store_2addr_b64 v52, v[8:9], v[10:11] offset1:17
	s_waitcnt lgkmcnt(0)
	s_barrier
	buffer_gl0_inv
	s_and_saveexec_b32 s1, s0
	s_cbranch_execz .LBB0_17
; %bb.16:
	v_add_nc_u32_e32 v0, 0x800, v58
	v_add_nc_u32_e32 v1, 0x1000, v58
	v_add_nc_u32_e32 v2, 0x1800, v58
	v_add_nc_u32_e32 v3, 0x2000, v58
	ds_load_2addr_b64 v[8:11], v58 offset1:136
	ds_load_2addr_b64 v[16:19], v0 offset0:16 offset1:152
	ds_load_2addr_b64 v[24:27], v1 offset0:32 offset1:168
	;; [unrolled: 1-line block ×4, first 2 shown]
	ds_load_b64 v[92:93], v58 offset:10880
.LBB0_17:
	s_or_b32 exec_lo, exec_lo, s1
	v_mul_f64 v[14:15], v[74:75], v[14:15]
	s_waitcnt lgkmcnt(0)
	s_barrier
	buffer_gl0_inv
	v_fma_f64 v[12:13], v[32:33], v[12:13], -v[14:15]
	v_fma_f64 v[14:15], v[36:37], 2.0, -v[34:35]
	s_delay_alu instid0(VALU_DEP_2) | instskip(NEXT) | instid1(VALU_DEP_1)
	v_add_f64 v[12:13], v[28:29], -v[12:13]
	v_fma_f64 v[28:29], v[28:29], 2.0, -v[12:13]
	v_add_f64 v[30:31], v[12:13], -v[30:31]
	s_delay_alu instid0(VALU_DEP_2) | instskip(NEXT) | instid1(VALU_DEP_2)
	v_add_f64 v[14:15], v[28:29], -v[14:15]
	v_fma_f64 v[53:54], v[12:13], 2.0, -v[30:31]
	v_fma_f64 v[12:13], v[40:41], 2.0, -v[42:43]
	v_add_f64 v[34:35], v[30:31], v[50:51]
	s_delay_alu instid0(VALU_DEP_4) | instskip(NEXT) | instid1(VALU_DEP_4)
	v_fma_f64 v[40:41], v[28:29], 2.0, -v[14:15]
	v_add_f64 v[28:29], v[53:54], -v[48:49]
	v_add_f64 v[32:33], v[14:15], -v[38:39]
	s_delay_alu instid0(VALU_DEP_4) | instskip(NEXT) | instid1(VALU_DEP_4)
	v_add_f64 v[34:35], v[34:35], -v[46:47]
	v_add_f64 v[36:37], v[40:41], -v[12:13]
	s_delay_alu instid0(VALU_DEP_4) | instskip(NEXT) | instid1(VALU_DEP_4)
	v_add_f64 v[38:39], v[28:29], -v[44:45]
	v_fma_f64 v[28:29], v[14:15], 2.0, -v[32:33]
	s_delay_alu instid0(VALU_DEP_4) | instskip(NEXT) | instid1(VALU_DEP_4)
	v_fma_f64 v[30:31], v[30:31], 2.0, -v[34:35]
	v_fma_f64 v[12:13], v[40:41], 2.0, -v[36:37]
	s_delay_alu instid0(VALU_DEP_4)
	v_fma_f64 v[14:15], v[53:54], 2.0, -v[38:39]
	ds_store_2addr_b64 v52, v[32:33], v[34:35] offset0:102 offset1:119
	ds_store_2addr_b64 v52, v[28:29], v[30:31] offset0:34 offset1:51
	;; [unrolled: 1-line block ×3, first 2 shown]
	ds_store_2addr_b64 v52, v[12:13], v[14:15] offset1:17
	s_waitcnt lgkmcnt(0)
	s_barrier
	buffer_gl0_inv
	s_and_saveexec_b32 s1, s0
	s_cbranch_execnz .LBB0_20
; %bb.18:
	s_or_b32 exec_lo, exec_lo, s1
	s_and_b32 s0, vcc_lo, s0
	s_delay_alu instid0(SALU_CYCLE_1)
	s_and_saveexec_b32 s1, s0
	s_cbranch_execnz .LBB0_21
.LBB0_19:
	s_endpgm
.LBB0_20:
	v_add_nc_u32_e32 v4, 0x800, v58
	v_add_nc_u32_e32 v5, 0x1000, v58
	;; [unrolled: 1-line block ×4, first 2 shown]
	ds_load_2addr_b64 v[12:15], v58 offset1:136
	ds_load_2addr_b64 v[28:31], v4 offset0:16 offset1:152
	ds_load_2addr_b64 v[36:39], v5 offset0:32 offset1:168
	;; [unrolled: 1-line block ×4, first 2 shown]
	ds_load_b64 v[94:95], v58 offset:10880
	s_or_b32 exec_lo, exec_lo, s1
	s_and_b32 s0, vcc_lo, s0
	s_delay_alu instid0(SALU_CYCLE_1)
	s_and_saveexec_b32 s1, s0
	s_cbranch_execz .LBB0_19
.LBB0_21:
	v_add_nc_u32_e32 v131, 0x330, v124
	v_mul_u32_u24_e32 v40, 10, v124
	v_mad_u64_u32 v[80:81], null, s8, v124, 0
	v_add_nc_u32_e32 v127, 0x110, v124
	s_delay_alu instid0(VALU_DEP_4)
	v_mad_u64_u32 v[102:103], null, s8, v131, 0
	v_add_nc_u32_e32 v130, 0x2a8, v124
	v_add_nc_u32_e32 v132, 0x3b8, v124
	;; [unrolled: 1-line block ×3, first 2 shown]
	s_mov_b32 s19, 0x3fed1bb4
	s_mov_b32 s18, 0x8eee2c13
	v_mad_u64_u32 v[100:101], null, s8, v130, 0
	v_add_nc_u32_e32 v128, 0x198, v124
	v_mad_u64_u32 v[104:105], null, s8, v132, 0
	v_mad_u64_u32 v[122:123], null, s8, v135, 0
	s_delay_alu instid0(VALU_DEP_3)
	v_mad_u64_u32 v[96:97], null, s8, v128, 0
	v_add_nc_u32_e32 v129, 0x220, v124
	s_mov_b32 s20, 0x43842ef
	s_mov_b32 s22, 0xbb3a28a1
	;; [unrolled: 1-line block ×4, first 2 shown]
	v_mad_u64_u32 v[98:99], null, s8, v129, 0
	v_add_nc_u32_e32 v82, 0x88, v124
	s_mov_b32 s21, 0xbfefac9e
	s_mov_b32 s23, 0xbfe82f19
	s_mov_b32 s15, 0x3fe14ced
	s_mov_b32 s17, 0xbfd207e7
	v_mad_u64_u32 v[87:88], null, s8, v82, 0
	v_lshlrev_b32_e32 v56, 4, v40
	v_mad_u64_u32 v[125:126], null, s9, v124, v[81:82]
	s_mov_b32 s25, 0xbfe14ced
	s_mov_b32 s24, s14
	;; [unrolled: 1-line block ×3, first 2 shown]
	s_delay_alu instid0(VALU_DEP_3)
	v_mov_b32_e32 v81, v88
	s_clause 0x9
	global_load_b128 v[48:51], v56, s[4:5] offset:1904
	global_load_b128 v[44:47], v56, s[4:5] offset:1968
	;; [unrolled: 1-line block ×10, first 2 shown]
	s_mov_b32 s2, 0xd9c712b6
	s_mov_b32 s0, 0x7f775887
	;; [unrolled: 1-line block ×13, first 2 shown]
	s_waitcnt vmcnt(9)
	v_mul_f64 v[83:84], v[10:11], v[50:51]
	s_waitcnt lgkmcnt(5)
	v_mul_f64 v[85:86], v[14:15], v[50:51]
	s_waitcnt vmcnt(8) lgkmcnt(3)
	v_mul_f64 v[108:109], v[38:39], v[46:47]
	s_waitcnt vmcnt(6)
	v_mul_f64 v[112:113], v[16:17], v[78:79]
	v_mul_f64 v[78:79], v[28:29], v[78:79]
	s_waitcnt lgkmcnt(2)
	v_mul_f64 v[110:111], v[32:33], v[42:43]
	v_mul_f64 v[42:43], v[20:21], v[42:43]
	;; [unrolled: 1-line block ×3, first 2 shown]
	v_add_co_u32 v50, vcc_lo, s10, v90
	v_mad_u64_u32 v[89:90], null, s8, v127, 0
	s_waitcnt vmcnt(2)
	v_mul_f64 v[114:115], v[30:31], v[66:67]
	s_waitcnt vmcnt(1) lgkmcnt(1)
	v_mul_f64 v[116:117], v[4:5], v[62:63]
	v_mul_f64 v[66:67], v[18:19], v[66:67]
	;; [unrolled: 1-line block ×3, first 2 shown]
	s_waitcnt vmcnt(0)
	v_mul_f64 v[120:121], v[6:7], v[58:59]
	v_mul_f64 v[58:59], v[2:3], v[58:59]
	v_mov_b32_e32 v88, v90
	v_add_co_ci_u32_e32 v51, vcc_lo, s11, v91, vcc_lo
	v_dual_mov_b32 v90, v97 :: v_dual_mov_b32 v91, v99
	v_mov_b32_e32 v97, v101
	v_mov_b32_e32 v99, v103
	;; [unrolled: 1-line block ×3, first 2 shown]
	v_fma_f64 v[14:15], v[14:15], v[48:49], -v[83:84]
	v_fma_f64 v[10:11], v[10:11], v[48:49], v[85:86]
	v_mul_f64 v[48:49], v[34:35], v[70:71]
	s_waitcnt lgkmcnt(0)
	v_mul_f64 v[85:86], v[94:95], v[54:55]
	v_mul_f64 v[54:55], v[92:93], v[54:55]
	;; [unrolled: 1-line block ×5, first 2 shown]
	v_fma_f64 v[26:27], v[26:27], v[44:45], v[108:109]
	v_fma_f64 v[28:29], v[28:29], v[76:77], -v[112:113]
	v_fma_f64 v[16:17], v[16:17], v[76:77], v[78:79]
	v_fma_f64 v[20:21], v[20:21], v[40:41], v[110:111]
	v_fma_f64 v[32:33], v[32:33], v[40:41], -v[42:43]
	v_mad_u64_u32 v[40:41], null, s9, v127, v[88:89]
	v_add_nc_u32_e32 v133, 0x440, v124
	v_fma_f64 v[38:39], v[38:39], v[44:45], -v[46:47]
	v_mad_u64_u32 v[43:44], null, s9, v128, v[90:91]
	v_mad_u64_u32 v[44:45], null, s9, v129, v[91:92]
	v_mov_b32_e32 v90, v40
	v_mad_u64_u32 v[106:107], null, s8, v133, 0
	v_add_nc_u32_e32 v134, 0x4c8, v124
	v_fma_f64 v[18:19], v[18:19], v[64:65], v[114:115]
	v_fma_f64 v[0:1], v[0:1], v[60:61], v[116:117]
	v_fma_f64 v[30:31], v[30:31], v[64:65], -v[66:67]
	v_fma_f64 v[4:5], v[4:5], v[60:61], -v[62:63]
	v_fma_f64 v[2:3], v[2:3], v[56:57], v[120:121]
	v_mov_b32_e32 v103, v107
	v_mad_u64_u32 v[118:119], null, s8, v134, 0
	v_mov_b32_e32 v107, v123
	v_mad_u64_u32 v[123:124], null, s9, v82, v[81:82]
	v_fma_f64 v[6:7], v[6:7], v[56:57], -v[58:59]
	v_mad_u64_u32 v[45:46], null, s9, v130, v[97:98]
	v_add_f64 v[108:109], v[12:13], v[14:15]
	v_add_f64 v[76:77], v[8:9], v[10:11]
	v_mov_b32_e32 v105, v119
	v_fma_f64 v[22:23], v[22:23], v[68:69], v[48:49]
	v_fma_f64 v[48:49], v[92:93], v[52:53], v[85:86]
	v_fma_f64 v[41:42], v[94:95], v[52:53], -v[54:55]
	v_mad_u64_u32 v[52:53], null, s9, v132, v[101:102]
	v_mad_u64_u32 v[53:54], null, s9, v133, v[103:104]
	v_fma_f64 v[24:25], v[24:25], v[72:73], v[83:84]
	v_fma_f64 v[36:37], v[36:37], v[72:73], -v[74:75]
	v_fma_f64 v[34:35], v[34:35], v[68:69], -v[70:71]
	v_mad_u64_u32 v[54:55], null, s9, v134, v[105:106]
	v_mov_b32_e32 v88, v123
	v_mad_u64_u32 v[46:47], null, s9, v131, v[99:100]
	v_mov_b32_e32 v97, v43
	v_mov_b32_e32 v99, v44
	;; [unrolled: 1-line block ×3, first 2 shown]
	v_add_f64 v[64:65], v[26:27], -v[20:21]
	v_mov_b32_e32 v105, v52
	v_mov_b32_e32 v119, v54
	;; [unrolled: 1-line block ×3, first 2 shown]
	v_add_f64 v[45:46], v[38:39], -v[32:33]
	v_add_f64 v[66:67], v[18:19], -v[0:1]
	;; [unrolled: 1-line block ×3, first 2 shown]
	v_add_f64 v[94:95], v[30:31], v[4:5]
	v_lshlrev_b64 v[72:73], 4, v[87:88]
	v_lshlrev_b64 v[74:75], 4, v[89:90]
	;; [unrolled: 1-line block ×6, first 2 shown]
	v_add_f64 v[78:79], v[28:29], -v[6:7]
	v_add_f64 v[100:101], v[38:39], v[32:33]
	v_mov_b32_e32 v81, v125
	v_mad_u64_u32 v[55:56], null, s9, v135, v[107:108]
	v_add_f64 v[56:57], v[28:29], v[108:109]
	v_add_f64 v[43:44], v[16:17], v[76:77]
	v_add_f64 v[60:61], v[10:11], -v[48:49]
	v_mov_b32_e32 v107, v53
	v_add_f64 v[52:53], v[14:15], -v[41:42]
	v_lshlrev_b64 v[76:77], 4, v[96:97]
	v_add_f64 v[96:97], v[18:19], v[0:1]
	v_mov_b32_e32 v123, v55
	v_add_f64 v[58:59], v[24:25], -v[22:23]
	v_lshlrev_b64 v[88:89], 4, v[106:107]
	v_add_f64 v[62:63], v[36:37], -v[34:35]
	v_add_f64 v[54:55], v[16:17], -v[2:3]
	v_lshlrev_b64 v[92:93], 4, v[122:123]
	v_add_f64 v[14:15], v[14:15], v[41:42]
	v_add_f64 v[10:11], v[10:11], v[48:49]
	;; [unrolled: 1-line block ×4, first 2 shown]
	v_lshlrev_b64 v[70:71], 4, v[80:81]
	v_lshlrev_b64 v[80:81], 4, v[98:99]
	v_mul_f64 v[108:109], v[64:65], s[18:19]
	v_add_f64 v[98:99], v[36:37], v[34:35]
	v_mul_f64 v[166:167], v[64:65], s[20:21]
	v_mul_f64 v[170:171], v[64:65], s[22:23]
	;; [unrolled: 1-line block ×17, first 2 shown]
	v_add_f64 v[30:31], v[30:31], v[56:57]
	v_add_f64 v[18:19], v[18:19], v[43:44]
	v_mul_f64 v[104:105], v[60:61], s[16:17]
	v_mul_f64 v[110:111], v[60:61], s[22:23]
	;; [unrolled: 1-line block ×9, first 2 shown]
	s_mov_b32 s19, 0xbfed1bb4
	v_mul_f64 v[132:133], v[52:53], s[20:21]
	v_mul_f64 v[60:61], v[60:61], s[18:19]
	;; [unrolled: 1-line block ×9, first 2 shown]
	v_add_f64 v[43:44], v[26:27], v[20:21]
	v_add_f64 v[56:57], v[24:25], v[22:23]
	v_mul_f64 v[158:159], v[58:59], s[16:17]
	v_mul_f64 v[160:161], v[58:59], s[24:25]
	;; [unrolled: 1-line block ×5, first 2 shown]
	v_fma_f64 v[186:187], v[94:95], s[0:1], v[124:125]
	v_fma_f64 v[190:191], v[96:97], s[0:1], -v[128:129]
	v_fma_f64 v[124:125], v[94:95], s[0:1], -v[124:125]
	;; [unrolled: 1-line block ×3, first 2 shown]
	v_fma_f64 v[206:207], v[94:95], s[12:13], v[146:147]
	v_fma_f64 v[208:209], v[16:17], s[4:5], -v[136:137]
	v_fma_f64 v[136:137], v[16:17], s[4:5], v[136:137]
	v_fma_f64 v[210:211], v[16:17], s[6:7], -v[152:153]
	v_fma_f64 v[152:153], v[16:17], s[6:7], v[152:153]
	v_fma_f64 v[212:213], v[16:17], s[12:13], v[154:155]
	v_add_f64 v[30:31], v[36:37], v[30:31]
	v_add_f64 v[18:19], v[24:25], v[18:19]
	v_fma_f64 v[176:177], v[14:15], s[12:13], v[104:105]
	v_fma_f64 v[104:105], v[14:15], s[12:13], -v[104:105]
	v_fma_f64 v[178:179], v[14:15], s[0:1], v[110:111]
	v_fma_f64 v[110:111], v[14:15], s[0:1], -v[110:111]
	v_fma_f64 v[180:181], v[14:15], s[6:7], v[116:117]
	v_fma_f64 v[116:117], v[14:15], s[6:7], -v[116:117]
	v_fma_f64 v[182:183], v[14:15], s[4:5], v[120:121]
	v_fma_f64 v[120:121], v[14:15], s[4:5], -v[120:121]
	v_fma_f64 v[184:185], v[10:11], s[12:13], -v[122:123]
	v_fma_f64 v[196:197], v[10:11], s[4:5], -v[134:135]
	;; [unrolled: 1-line block ×3, first 2 shown]
	v_fma_f64 v[192:193], v[14:15], s[2:3], v[60:61]
	v_fma_f64 v[14:15], v[14:15], s[2:3], -v[60:61]
	v_fma_f64 v[60:61], v[10:11], s[12:13], v[122:123]
	v_fma_f64 v[122:123], v[10:11], s[0:1], -v[130:131]
	v_fma_f64 v[130:131], v[10:11], s[0:1], v[130:131]
	v_fma_f64 v[132:133], v[10:11], s[6:7], v[132:133]
	v_fma_f64 v[200:201], v[10:11], s[2:3], -v[52:53]
	v_fma_f64 v[202:203], v[28:29], s[12:13], v[144:145]
	v_fma_f64 v[144:145], v[28:29], s[12:13], -v[144:145]
	;; [unrolled: 2-line block ×3, first 2 shown]
	v_fma_f64 v[154:155], v[16:17], s[12:13], -v[154:155]
	v_mul_f64 v[36:37], v[62:63], s[16:17]
	v_mul_f64 v[24:25], v[62:63], s[24:25]
	;; [unrolled: 1-line block ×3, first 2 shown]
	v_fma_f64 v[146:147], v[94:95], s[12:13], -v[146:147]
	v_fma_f64 v[204:205], v[96:97], s[2:3], -v[118:119]
	v_fma_f64 v[118:119], v[96:97], s[2:3], v[118:119]
	v_mul_f64 v[168:169], v[45:46], s[20:21]
	v_mul_f64 v[172:173], v[45:46], s[22:23]
	;; [unrolled: 1-line block ×4, first 2 shown]
	v_add_co_u32 v70, vcc_lo, v50, v70
	v_add_co_ci_u32_e32 v71, vcc_lo, v51, v71, vcc_lo
	v_add_f64 v[30:31], v[38:39], v[30:31]
	v_fma_f64 v[38:39], v[10:11], s[4:5], v[134:135]
	v_add_f64 v[18:19], v[26:27], v[18:19]
	v_fma_f64 v[10:11], v[10:11], s[2:3], v[52:53]
	v_fma_f64 v[134:135], v[28:29], s[6:7], v[140:141]
	v_fma_f64 v[140:141], v[28:29], s[6:7], -v[140:141]
	v_add_f64 v[176:177], v[12:13], v[176:177]
	v_add_f64 v[104:105], v[12:13], v[104:105]
	;; [unrolled: 1-line block ×12, first 2 shown]
	v_fma_f64 v[14:15], v[28:29], s[0:1], v[148:149]
	v_fma_f64 v[148:149], v[28:29], s[0:1], -v[148:149]
	v_add_f64 v[122:123], v[8:9], v[122:123]
	v_add_f64 v[130:131], v[8:9], v[130:131]
	;; [unrolled: 1-line block ×6, first 2 shown]
	v_fma_f64 v[26:27], v[96:97], s[0:1], v[128:129]
	v_fma_f64 v[128:129], v[94:95], s[4:5], v[138:139]
	v_fma_f64 v[138:139], v[94:95], s[4:5], -v[138:139]
	v_fma_f64 v[52:53], v[96:97], s[4:5], v[142:143]
	v_fma_f64 v[142:143], v[94:95], s[2:3], v[114:115]
	v_fma_f64 v[114:115], v[94:95], s[2:3], -v[114:115]
	v_add_co_u32 v72, vcc_lo, v50, v72
	v_add_co_ci_u32_e32 v73, vcc_lo, v51, v73, vcc_lo
	v_add_co_u32 v74, vcc_lo, v50, v74
	v_add_f64 v[30:31], v[32:33], v[30:31]
	v_fma_f64 v[32:33], v[28:29], s[2:3], -v[54:55]
	v_add_f64 v[18:19], v[20:21], v[18:19]
	v_fma_f64 v[20:21], v[16:17], s[2:3], v[78:79]
	v_add_f64 v[38:39], v[8:9], v[38:39]
	v_add_f64 v[8:9], v[8:9], v[10:11]
	v_fma_f64 v[10:11], v[16:17], s[0:1], v[156:157]
	v_fma_f64 v[78:79], v[16:17], s[2:3], -v[78:79]
	v_fma_f64 v[16:17], v[16:17], s[0:1], -v[156:157]
	v_fma_f64 v[28:29], v[28:29], s[2:3], v[54:55]
	v_fma_f64 v[156:157], v[94:95], s[6:7], v[66:67]
	v_fma_f64 v[66:67], v[94:95], s[6:7], -v[66:67]
	v_fma_f64 v[94:95], v[96:97], s[6:7], -v[68:69]
	v_fma_f64 v[68:69], v[96:97], s[6:7], v[68:69]
	v_add_f64 v[60:61], v[136:137], v[60:61]
	v_fma_f64 v[54:55], v[96:97], s[12:13], -v[150:151]
	v_fma_f64 v[150:151], v[96:97], s[12:13], v[150:151]
	v_add_f64 v[110:111], v[140:141], v[110:111]
	v_add_f64 v[116:117], v[144:145], v[116:117]
	;; [unrolled: 1-line block ×10, first 2 shown]
	v_fma_f64 v[188:189], v[98:99], s[2:3], v[102:103]
	v_fma_f64 v[208:209], v[56:57], s[2:3], -v[106:107]
	v_fma_f64 v[102:103], v[98:99], s[2:3], -v[102:103]
	v_fma_f64 v[106:107], v[56:57], s[2:3], v[106:107]
	v_fma_f64 v[126:127], v[98:99], s[12:13], v[158:159]
	v_fma_f64 v[136:137], v[56:57], s[12:13], -v[36:37]
	v_fma_f64 v[158:159], v[98:99], s[12:13], -v[158:159]
	v_fma_f64 v[36:37], v[56:57], s[12:13], v[36:37]
	v_fma_f64 v[140:141], v[98:99], s[6:7], v[162:163]
	v_fma_f64 v[144:145], v[56:57], s[6:7], -v[164:165]
	v_fma_f64 v[148:149], v[98:99], s[6:7], -v[162:163]
	v_add_f64 v[30:31], v[34:35], v[30:31]
	v_add_f64 v[32:33], v[32:33], v[120:121]
	v_add_f64 v[18:19], v[22:23], v[18:19]
	v_add_f64 v[22:23], v[202:203], v[180:181]
	v_add_f64 v[20:21], v[20:21], v[38:39]
	v_add_f64 v[34:35], v[154:155], v[194:195]
	v_add_f64 v[8:9], v[10:11], v[8:9]
	v_add_f64 v[10:11], v[212:213], v[132:133]
	v_add_f64 v[16:17], v[16:17], v[200:201]
	v_add_f64 v[28:29], v[28:29], v[182:183]
	v_add_f64 v[38:39], v[78:79], v[196:197]
	v_fma_f64 v[78:79], v[98:99], s[4:5], v[160:161]
	v_fma_f64 v[120:121], v[56:57], s[4:5], -v[24:25]
	v_fma_f64 v[132:133], v[98:99], s[4:5], -v[160:161]
	v_fma_f64 v[24:25], v[56:57], s[4:5], v[24:25]
	v_fma_f64 v[152:153], v[56:57], s[6:7], v[164:165]
	v_fma_f64 v[154:155], v[98:99], s[0:1], v[58:59]
	v_fma_f64 v[58:59], v[98:99], s[0:1], -v[58:59]
	v_fma_f64 v[98:99], v[56:57], s[0:1], -v[62:63]
	v_fma_f64 v[56:57], v[56:57], s[0:1], v[62:63]
	v_add_f64 v[26:27], v[26:27], v[60:61]
	v_mul_f64 v[96:97], v[45:46], s[14:15]
	v_mul_f64 v[45:46], v[45:46], s[16:17]
	v_add_f64 v[110:111], v[138:139], v[110:111]
	v_add_f64 v[52:53], v[52:53], v[130:131]
	;; [unrolled: 1-line block ×6, first 2 shown]
	v_fma_f64 v[62:63], v[100:101], s[6:7], v[166:167]
	v_fma_f64 v[160:161], v[43:44], s[6:7], -v[168:169]
	v_fma_f64 v[162:163], v[100:101], s[6:7], -v[166:167]
	v_fma_f64 v[164:165], v[43:44], s[6:7], v[168:169]
	v_add_f64 v[166:167], v[186:187], v[176:177]
	v_add_f64 v[168:169], v[190:191], v[184:185]
	;; [unrolled: 1-line block ×4, first 2 shown]
	v_fma_f64 v[128:129], v[100:101], s[12:13], v[64:65]
	v_add_f64 v[4:5], v[4:5], v[30:31]
	v_add_f64 v[32:33], v[66:67], v[32:33]
	;; [unrolled: 1-line block ×11, first 2 shown]
	v_fma_f64 v[38:39], v[43:44], s[2:3], -v[112:113]
	v_fma_f64 v[66:67], v[43:44], s[2:3], v[112:113]
	v_fma_f64 v[94:95], v[43:44], s[0:1], -v[172:173]
	v_fma_f64 v[112:113], v[43:44], s[0:1], v[172:173]
	v_fma_f64 v[64:65], v[100:101], s[12:13], -v[64:65]
	v_fma_f64 v[124:125], v[100:101], s[4:5], -v[174:175]
	v_fma_f64 v[34:35], v[100:101], s[2:3], v[108:109]
	v_fma_f64 v[54:55], v[100:101], s[2:3], -v[108:109]
	v_fma_f64 v[108:109], v[100:101], s[0:1], -v[170:171]
	v_add_f64 v[26:27], v[106:107], v[26:27]
	v_fma_f64 v[118:119], v[43:44], s[4:5], -v[96:97]
	v_fma_f64 v[96:97], v[43:44], s[4:5], v[96:97]
	v_fma_f64 v[130:131], v[43:44], s[12:13], -v[45:46]
	v_fma_f64 v[43:44], v[43:44], s[12:13], v[45:46]
	v_add_f64 v[106:107], v[158:159], v[110:111]
	v_add_f64 v[36:37], v[36:37], v[52:53]
	;; [unrolled: 1-line block ×6, first 2 shown]
	v_fma_f64 v[68:69], v[100:101], s[0:1], v[170:171]
	v_fma_f64 v[116:117], v[100:101], s[4:5], v[174:175]
	v_add_f64 v[45:46], v[188:189], v[166:167]
	v_add_f64 v[100:101], v[208:209], v[168:169]
	;; [unrolled: 1-line block ×4, first 2 shown]
	v_add_co_ci_u32_e32 v75, vcc_lo, v51, v75, vcc_lo
	v_add_f64 v[32:33], v[58:59], v[32:33]
	v_add_f64 v[58:59], v[2:3], v[0:1]
	;; [unrolled: 1-line block ×11, first 2 shown]
	v_add_co_u32 v76, vcc_lo, v50, v76
	v_add_co_ci_u32_e32 v77, vcc_lo, v51, v77, vcc_lo
	v_add_f64 v[4:5], v[164:165], v[26:27]
	v_add_f64 v[14:15], v[54:55], v[106:107]
	v_add_f64 v[12:13], v[66:67], v[36:37]
	v_add_f64 v[18:19], v[108:109], v[52:53]
	v_add_f64 v[30:31], v[124:125], v[110:111]
	v_add_f64 v[6:7], v[162:163], v[102:103]
	v_add_f64 v[8:9], v[38:39], v[104:105]
	v_add_f64 v[2:3], v[62:63], v[45:46]
	v_add_f64 v[0:1], v[160:161], v[100:101]
	v_add_f64 v[10:11], v[34:35], v[60:61]
	v_add_f64 v[22:23], v[64:65], v[32:33]
	v_add_f64 v[24:25], v[48:49], v[58:59]
	v_add_f64 v[34:35], v[68:69], v[78:79]
	v_add_f64 v[20:21], v[43:44], v[20:21]
	v_add_f64 v[26:27], v[41:42], v[56:57]
	v_add_f64 v[28:29], v[96:97], v[114:115]
	v_add_f64 v[16:17], v[112:113], v[122:123]
	v_add_f64 v[32:33], v[94:95], v[120:121]
	v_add_f64 v[42:43], v[116:117], v[132:133]
	v_add_f64 v[40:41], v[118:119], v[134:135]
	v_add_f64 v[38:39], v[128:129], v[126:127]
	v_add_f64 v[36:37], v[130:131], v[98:99]
	v_add_co_u32 v44, vcc_lo, v50, v80
	v_add_co_ci_u32_e32 v45, vcc_lo, v51, v81, vcc_lo
	v_add_co_u32 v46, vcc_lo, v50, v82
	v_add_co_ci_u32_e32 v47, vcc_lo, v51, v83, vcc_lo
	;; [unrolled: 2-line block ×7, first 2 shown]
	s_clause 0xa
	global_store_b128 v[70:71], v[24:27], off
	global_store_b128 v[72:73], v[20:23], off
	;; [unrolled: 1-line block ×11, first 2 shown]
	s_nop 0
	s_sendmsg sendmsg(MSG_DEALLOC_VGPRS)
	s_endpgm
	.section	.rodata,"a",@progbits
	.p2align	6, 0x0
	.amdhsa_kernel fft_rtc_back_len1496_factors_17_8_11_wgs_187_tpt_187_halfLds_dp_ip_CI_sbrr_dirReg
		.amdhsa_group_segment_fixed_size 0
		.amdhsa_private_segment_fixed_size 0
		.amdhsa_kernarg_size 88
		.amdhsa_user_sgpr_count 15
		.amdhsa_user_sgpr_dispatch_ptr 0
		.amdhsa_user_sgpr_queue_ptr 0
		.amdhsa_user_sgpr_kernarg_segment_ptr 1
		.amdhsa_user_sgpr_dispatch_id 0
		.amdhsa_user_sgpr_private_segment_size 0
		.amdhsa_wavefront_size32 1
		.amdhsa_uses_dynamic_stack 0
		.amdhsa_enable_private_segment 0
		.amdhsa_system_sgpr_workgroup_id_x 1
		.amdhsa_system_sgpr_workgroup_id_y 0
		.amdhsa_system_sgpr_workgroup_id_z 0
		.amdhsa_system_sgpr_workgroup_info 0
		.amdhsa_system_vgpr_workitem_id 0
		.amdhsa_next_free_vgpr 214
		.amdhsa_next_free_sgpr 58
		.amdhsa_reserve_vcc 1
		.amdhsa_float_round_mode_32 0
		.amdhsa_float_round_mode_16_64 0
		.amdhsa_float_denorm_mode_32 3
		.amdhsa_float_denorm_mode_16_64 3
		.amdhsa_dx10_clamp 1
		.amdhsa_ieee_mode 1
		.amdhsa_fp16_overflow 0
		.amdhsa_workgroup_processor_mode 1
		.amdhsa_memory_ordered 1
		.amdhsa_forward_progress 0
		.amdhsa_shared_vgpr_count 0
		.amdhsa_exception_fp_ieee_invalid_op 0
		.amdhsa_exception_fp_denorm_src 0
		.amdhsa_exception_fp_ieee_div_zero 0
		.amdhsa_exception_fp_ieee_overflow 0
		.amdhsa_exception_fp_ieee_underflow 0
		.amdhsa_exception_fp_ieee_inexact 0
		.amdhsa_exception_int_div_zero 0
	.end_amdhsa_kernel
	.text
.Lfunc_end0:
	.size	fft_rtc_back_len1496_factors_17_8_11_wgs_187_tpt_187_halfLds_dp_ip_CI_sbrr_dirReg, .Lfunc_end0-fft_rtc_back_len1496_factors_17_8_11_wgs_187_tpt_187_halfLds_dp_ip_CI_sbrr_dirReg
                                        ; -- End function
	.section	.AMDGPU.csdata,"",@progbits
; Kernel info:
; codeLenInByte = 14316
; NumSgprs: 60
; NumVgprs: 214
; ScratchSize: 0
; MemoryBound: 1
; FloatMode: 240
; IeeeMode: 1
; LDSByteSize: 0 bytes/workgroup (compile time only)
; SGPRBlocks: 7
; VGPRBlocks: 26
; NumSGPRsForWavesPerEU: 60
; NumVGPRsForWavesPerEU: 214
; Occupancy: 7
; WaveLimiterHint : 1
; COMPUTE_PGM_RSRC2:SCRATCH_EN: 0
; COMPUTE_PGM_RSRC2:USER_SGPR: 15
; COMPUTE_PGM_RSRC2:TRAP_HANDLER: 0
; COMPUTE_PGM_RSRC2:TGID_X_EN: 1
; COMPUTE_PGM_RSRC2:TGID_Y_EN: 0
; COMPUTE_PGM_RSRC2:TGID_Z_EN: 0
; COMPUTE_PGM_RSRC2:TIDIG_COMP_CNT: 0
	.text
	.p2alignl 7, 3214868480
	.fill 96, 4, 3214868480
	.type	__hip_cuid_193c1349906f3537,@object ; @__hip_cuid_193c1349906f3537
	.section	.bss,"aw",@nobits
	.globl	__hip_cuid_193c1349906f3537
__hip_cuid_193c1349906f3537:
	.byte	0                               ; 0x0
	.size	__hip_cuid_193c1349906f3537, 1

	.ident	"AMD clang version 19.0.0git (https://github.com/RadeonOpenCompute/llvm-project roc-6.4.0 25133 c7fe45cf4b819c5991fe208aaa96edf142730f1d)"
	.section	".note.GNU-stack","",@progbits
	.addrsig
	.addrsig_sym __hip_cuid_193c1349906f3537
	.amdgpu_metadata
---
amdhsa.kernels:
  - .args:
      - .actual_access:  read_only
        .address_space:  global
        .offset:         0
        .size:           8
        .value_kind:     global_buffer
      - .offset:         8
        .size:           8
        .value_kind:     by_value
      - .actual_access:  read_only
        .address_space:  global
        .offset:         16
        .size:           8
        .value_kind:     global_buffer
      - .actual_access:  read_only
        .address_space:  global
        .offset:         24
        .size:           8
        .value_kind:     global_buffer
      - .offset:         32
        .size:           8
        .value_kind:     by_value
      - .actual_access:  read_only
        .address_space:  global
        .offset:         40
        .size:           8
        .value_kind:     global_buffer
      - .actual_access:  read_only
        .address_space:  global
        .offset:         48
        .size:           8
        .value_kind:     global_buffer
      - .offset:         56
        .size:           4
        .value_kind:     by_value
      - .actual_access:  read_only
        .address_space:  global
        .offset:         64
        .size:           8
        .value_kind:     global_buffer
      - .actual_access:  read_only
        .address_space:  global
        .offset:         72
        .size:           8
        .value_kind:     global_buffer
      - .address_space:  global
        .offset:         80
        .size:           8
        .value_kind:     global_buffer
    .group_segment_fixed_size: 0
    .kernarg_segment_align: 8
    .kernarg_segment_size: 88
    .language:       OpenCL C
    .language_version:
      - 2
      - 0
    .max_flat_workgroup_size: 187
    .name:           fft_rtc_back_len1496_factors_17_8_11_wgs_187_tpt_187_halfLds_dp_ip_CI_sbrr_dirReg
    .private_segment_fixed_size: 0
    .sgpr_count:     60
    .sgpr_spill_count: 0
    .symbol:         fft_rtc_back_len1496_factors_17_8_11_wgs_187_tpt_187_halfLds_dp_ip_CI_sbrr_dirReg.kd
    .uniform_work_group_size: 1
    .uses_dynamic_stack: false
    .vgpr_count:     214
    .vgpr_spill_count: 0
    .wavefront_size: 32
    .workgroup_processor_mode: 1
amdhsa.target:   amdgcn-amd-amdhsa--gfx1100
amdhsa.version:
  - 1
  - 2
...

	.end_amdgpu_metadata
